;; amdgpu-corpus repo=ROCm/rocSOLVER kind=compiled arch=gfx906 opt=O3
	.amdgcn_target "amdgcn-amd-amdhsa--gfx906"
	.amdhsa_code_object_version 6
	.section	.text._ZN9rocsolver6v33100L10reset_infoIiiiEEvPT_T0_T1_S4_,"axG",@progbits,_ZN9rocsolver6v33100L10reset_infoIiiiEEvPT_T0_T1_S4_,comdat
	.globl	_ZN9rocsolver6v33100L10reset_infoIiiiEEvPT_T0_T1_S4_ ; -- Begin function _ZN9rocsolver6v33100L10reset_infoIiiiEEvPT_T0_T1_S4_
	.p2align	8
	.type	_ZN9rocsolver6v33100L10reset_infoIiiiEEvPT_T0_T1_S4_,@function
_ZN9rocsolver6v33100L10reset_infoIiiiEEvPT_T0_T1_S4_: ; @_ZN9rocsolver6v33100L10reset_infoIiiiEEvPT_T0_T1_S4_
; %bb.0:
	s_load_dword s7, s[4:5], 0x24
	s_load_dwordx4 s[0:3], s[4:5], 0x8
	s_waitcnt lgkmcnt(0)
	s_and_b32 s3, s7, 0xffff
	s_mul_i32 s6, s6, s3
	v_add_u32_e32 v0, s6, v0
	v_cmp_gt_i32_e32 vcc, s0, v0
	s_and_saveexec_b64 s[6:7], vcc
	s_cbranch_execz .LBB0_2
; %bb.1:
	s_load_dwordx2 s[4:5], s[4:5], 0x0
	v_ashrrev_i32_e32 v1, 31, v0
	v_mul_lo_u32 v2, v0, s2
	v_lshlrev_b64 v[0:1], 2, v[0:1]
	s_waitcnt lgkmcnt(0)
	v_mov_b32_e32 v3, s5
	v_add_co_u32_e32 v0, vcc, s4, v0
	v_addc_co_u32_e32 v1, vcc, v3, v1, vcc
	v_add_u32_e32 v2, s1, v2
	global_store_dword v[0:1], v2, off
.LBB0_2:
	s_endpgm
	.section	.rodata,"a",@progbits
	.p2align	6, 0x0
	.amdhsa_kernel _ZN9rocsolver6v33100L10reset_infoIiiiEEvPT_T0_T1_S4_
		.amdhsa_group_segment_fixed_size 0
		.amdhsa_private_segment_fixed_size 0
		.amdhsa_kernarg_size 280
		.amdhsa_user_sgpr_count 6
		.amdhsa_user_sgpr_private_segment_buffer 1
		.amdhsa_user_sgpr_dispatch_ptr 0
		.amdhsa_user_sgpr_queue_ptr 0
		.amdhsa_user_sgpr_kernarg_segment_ptr 1
		.amdhsa_user_sgpr_dispatch_id 0
		.amdhsa_user_sgpr_flat_scratch_init 0
		.amdhsa_user_sgpr_private_segment_size 0
		.amdhsa_uses_dynamic_stack 0
		.amdhsa_system_sgpr_private_segment_wavefront_offset 0
		.amdhsa_system_sgpr_workgroup_id_x 1
		.amdhsa_system_sgpr_workgroup_id_y 0
		.amdhsa_system_sgpr_workgroup_id_z 0
		.amdhsa_system_sgpr_workgroup_info 0
		.amdhsa_system_vgpr_workitem_id 0
		.amdhsa_next_free_vgpr 4
		.amdhsa_next_free_sgpr 8
		.amdhsa_reserve_vcc 1
		.amdhsa_reserve_flat_scratch 0
		.amdhsa_float_round_mode_32 0
		.amdhsa_float_round_mode_16_64 0
		.amdhsa_float_denorm_mode_32 3
		.amdhsa_float_denorm_mode_16_64 3
		.amdhsa_dx10_clamp 1
		.amdhsa_ieee_mode 1
		.amdhsa_fp16_overflow 0
		.amdhsa_exception_fp_ieee_invalid_op 0
		.amdhsa_exception_fp_denorm_src 0
		.amdhsa_exception_fp_ieee_div_zero 0
		.amdhsa_exception_fp_ieee_overflow 0
		.amdhsa_exception_fp_ieee_underflow 0
		.amdhsa_exception_fp_ieee_inexact 0
		.amdhsa_exception_int_div_zero 0
	.end_amdhsa_kernel
	.section	.text._ZN9rocsolver6v33100L10reset_infoIiiiEEvPT_T0_T1_S4_,"axG",@progbits,_ZN9rocsolver6v33100L10reset_infoIiiiEEvPT_T0_T1_S4_,comdat
.Lfunc_end0:
	.size	_ZN9rocsolver6v33100L10reset_infoIiiiEEvPT_T0_T1_S4_, .Lfunc_end0-_ZN9rocsolver6v33100L10reset_infoIiiiEEvPT_T0_T1_S4_
                                        ; -- End function
	.set _ZN9rocsolver6v33100L10reset_infoIiiiEEvPT_T0_T1_S4_.num_vgpr, 4
	.set _ZN9rocsolver6v33100L10reset_infoIiiiEEvPT_T0_T1_S4_.num_agpr, 0
	.set _ZN9rocsolver6v33100L10reset_infoIiiiEEvPT_T0_T1_S4_.numbered_sgpr, 8
	.set _ZN9rocsolver6v33100L10reset_infoIiiiEEvPT_T0_T1_S4_.num_named_barrier, 0
	.set _ZN9rocsolver6v33100L10reset_infoIiiiEEvPT_T0_T1_S4_.private_seg_size, 0
	.set _ZN9rocsolver6v33100L10reset_infoIiiiEEvPT_T0_T1_S4_.uses_vcc, 1
	.set _ZN9rocsolver6v33100L10reset_infoIiiiEEvPT_T0_T1_S4_.uses_flat_scratch, 0
	.set _ZN9rocsolver6v33100L10reset_infoIiiiEEvPT_T0_T1_S4_.has_dyn_sized_stack, 0
	.set _ZN9rocsolver6v33100L10reset_infoIiiiEEvPT_T0_T1_S4_.has_recursion, 0
	.set _ZN9rocsolver6v33100L10reset_infoIiiiEEvPT_T0_T1_S4_.has_indirect_call, 0
	.section	.AMDGPU.csdata,"",@progbits
; Kernel info:
; codeLenInByte = 108
; TotalNumSgprs: 12
; NumVgprs: 4
; ScratchSize: 0
; MemoryBound: 0
; FloatMode: 240
; IeeeMode: 1
; LDSByteSize: 0 bytes/workgroup (compile time only)
; SGPRBlocks: 1
; VGPRBlocks: 0
; NumSGPRsForWavesPerEU: 12
; NumVGPRsForWavesPerEU: 4
; Occupancy: 10
; WaveLimiterHint : 0
; COMPUTE_PGM_RSRC2:SCRATCH_EN: 0
; COMPUTE_PGM_RSRC2:USER_SGPR: 6
; COMPUTE_PGM_RSRC2:TRAP_HANDLER: 0
; COMPUTE_PGM_RSRC2:TGID_X_EN: 1
; COMPUTE_PGM_RSRC2:TGID_Y_EN: 0
; COMPUTE_PGM_RSRC2:TGID_Z_EN: 0
; COMPUTE_PGM_RSRC2:TIDIG_COMP_CNT: 0
	.section	.text._ZN9rocsolver6v33100L10reset_infoIfiiEEvPT_T0_T1_S4_,"axG",@progbits,_ZN9rocsolver6v33100L10reset_infoIfiiEEvPT_T0_T1_S4_,comdat
	.globl	_ZN9rocsolver6v33100L10reset_infoIfiiEEvPT_T0_T1_S4_ ; -- Begin function _ZN9rocsolver6v33100L10reset_infoIfiiEEvPT_T0_T1_S4_
	.p2align	8
	.type	_ZN9rocsolver6v33100L10reset_infoIfiiEEvPT_T0_T1_S4_,@function
_ZN9rocsolver6v33100L10reset_infoIfiiEEvPT_T0_T1_S4_: ; @_ZN9rocsolver6v33100L10reset_infoIfiiEEvPT_T0_T1_S4_
; %bb.0:
	s_load_dword s7, s[4:5], 0x24
	s_load_dwordx4 s[0:3], s[4:5], 0x8
	s_waitcnt lgkmcnt(0)
	s_and_b32 s3, s7, 0xffff
	s_mul_i32 s6, s6, s3
	v_add_u32_e32 v0, s6, v0
	v_cmp_gt_i32_e32 vcc, s0, v0
	s_and_saveexec_b64 s[6:7], vcc
	s_cbranch_execz .LBB1_2
; %bb.1:
	v_mul_lo_u32 v1, v0, s2
	s_load_dwordx2 s[2:3], s[4:5], 0x0
	v_cvt_f32_i32_e32 v2, s1
	v_cvt_f32_i32_e32 v3, v1
	v_ashrrev_i32_e32 v1, 31, v0
	v_lshlrev_b64 v[0:1], 2, v[0:1]
	s_waitcnt lgkmcnt(0)
	v_mov_b32_e32 v4, s3
	v_add_co_u32_e32 v0, vcc, s2, v0
	v_add_f32_e32 v2, v2, v3
	v_addc_co_u32_e32 v1, vcc, v4, v1, vcc
	global_store_dword v[0:1], v2, off
.LBB1_2:
	s_endpgm
	.section	.rodata,"a",@progbits
	.p2align	6, 0x0
	.amdhsa_kernel _ZN9rocsolver6v33100L10reset_infoIfiiEEvPT_T0_T1_S4_
		.amdhsa_group_segment_fixed_size 0
		.amdhsa_private_segment_fixed_size 0
		.amdhsa_kernarg_size 280
		.amdhsa_user_sgpr_count 6
		.amdhsa_user_sgpr_private_segment_buffer 1
		.amdhsa_user_sgpr_dispatch_ptr 0
		.amdhsa_user_sgpr_queue_ptr 0
		.amdhsa_user_sgpr_kernarg_segment_ptr 1
		.amdhsa_user_sgpr_dispatch_id 0
		.amdhsa_user_sgpr_flat_scratch_init 0
		.amdhsa_user_sgpr_private_segment_size 0
		.amdhsa_uses_dynamic_stack 0
		.amdhsa_system_sgpr_private_segment_wavefront_offset 0
		.amdhsa_system_sgpr_workgroup_id_x 1
		.amdhsa_system_sgpr_workgroup_id_y 0
		.amdhsa_system_sgpr_workgroup_id_z 0
		.amdhsa_system_sgpr_workgroup_info 0
		.amdhsa_system_vgpr_workitem_id 0
		.amdhsa_next_free_vgpr 5
		.amdhsa_next_free_sgpr 8
		.amdhsa_reserve_vcc 1
		.amdhsa_reserve_flat_scratch 0
		.amdhsa_float_round_mode_32 0
		.amdhsa_float_round_mode_16_64 0
		.amdhsa_float_denorm_mode_32 3
		.amdhsa_float_denorm_mode_16_64 3
		.amdhsa_dx10_clamp 1
		.amdhsa_ieee_mode 1
		.amdhsa_fp16_overflow 0
		.amdhsa_exception_fp_ieee_invalid_op 0
		.amdhsa_exception_fp_denorm_src 0
		.amdhsa_exception_fp_ieee_div_zero 0
		.amdhsa_exception_fp_ieee_overflow 0
		.amdhsa_exception_fp_ieee_underflow 0
		.amdhsa_exception_fp_ieee_inexact 0
		.amdhsa_exception_int_div_zero 0
	.end_amdhsa_kernel
	.section	.text._ZN9rocsolver6v33100L10reset_infoIfiiEEvPT_T0_T1_S4_,"axG",@progbits,_ZN9rocsolver6v33100L10reset_infoIfiiEEvPT_T0_T1_S4_,comdat
.Lfunc_end1:
	.size	_ZN9rocsolver6v33100L10reset_infoIfiiEEvPT_T0_T1_S4_, .Lfunc_end1-_ZN9rocsolver6v33100L10reset_infoIfiiEEvPT_T0_T1_S4_
                                        ; -- End function
	.set _ZN9rocsolver6v33100L10reset_infoIfiiEEvPT_T0_T1_S4_.num_vgpr, 5
	.set _ZN9rocsolver6v33100L10reset_infoIfiiEEvPT_T0_T1_S4_.num_agpr, 0
	.set _ZN9rocsolver6v33100L10reset_infoIfiiEEvPT_T0_T1_S4_.numbered_sgpr, 8
	.set _ZN9rocsolver6v33100L10reset_infoIfiiEEvPT_T0_T1_S4_.num_named_barrier, 0
	.set _ZN9rocsolver6v33100L10reset_infoIfiiEEvPT_T0_T1_S4_.private_seg_size, 0
	.set _ZN9rocsolver6v33100L10reset_infoIfiiEEvPT_T0_T1_S4_.uses_vcc, 1
	.set _ZN9rocsolver6v33100L10reset_infoIfiiEEvPT_T0_T1_S4_.uses_flat_scratch, 0
	.set _ZN9rocsolver6v33100L10reset_infoIfiiEEvPT_T0_T1_S4_.has_dyn_sized_stack, 0
	.set _ZN9rocsolver6v33100L10reset_infoIfiiEEvPT_T0_T1_S4_.has_recursion, 0
	.set _ZN9rocsolver6v33100L10reset_infoIfiiEEvPT_T0_T1_S4_.has_indirect_call, 0
	.section	.AMDGPU.csdata,"",@progbits
; Kernel info:
; codeLenInByte = 116
; TotalNumSgprs: 12
; NumVgprs: 5
; ScratchSize: 0
; MemoryBound: 0
; FloatMode: 240
; IeeeMode: 1
; LDSByteSize: 0 bytes/workgroup (compile time only)
; SGPRBlocks: 1
; VGPRBlocks: 1
; NumSGPRsForWavesPerEU: 12
; NumVGPRsForWavesPerEU: 5
; Occupancy: 10
; WaveLimiterHint : 0
; COMPUTE_PGM_RSRC2:SCRATCH_EN: 0
; COMPUTE_PGM_RSRC2:USER_SGPR: 6
; COMPUTE_PGM_RSRC2:TRAP_HANDLER: 0
; COMPUTE_PGM_RSRC2:TGID_X_EN: 1
; COMPUTE_PGM_RSRC2:TGID_Y_EN: 0
; COMPUTE_PGM_RSRC2:TGID_Z_EN: 0
; COMPUTE_PGM_RSRC2:TIDIG_COMP_CNT: 0
	.section	.text._ZN9rocsolver6v33100L8copy_matIfPfS2_NS0_7no_maskEEEviiT0_iilT1_iilT2_13rocblas_fill_17rocblas_diagonal_,"axG",@progbits,_ZN9rocsolver6v33100L8copy_matIfPfS2_NS0_7no_maskEEEviiT0_iilT1_iilT2_13rocblas_fill_17rocblas_diagonal_,comdat
	.globl	_ZN9rocsolver6v33100L8copy_matIfPfS2_NS0_7no_maskEEEviiT0_iilT1_iilT2_13rocblas_fill_17rocblas_diagonal_ ; -- Begin function _ZN9rocsolver6v33100L8copy_matIfPfS2_NS0_7no_maskEEEviiT0_iilT1_iilT2_13rocblas_fill_17rocblas_diagonal_
	.p2align	8
	.type	_ZN9rocsolver6v33100L8copy_matIfPfS2_NS0_7no_maskEEEviiT0_iilT1_iilT2_13rocblas_fill_17rocblas_diagonal_,@function
_ZN9rocsolver6v33100L8copy_matIfPfS2_NS0_7no_maskEEEviiT0_iilT1_iilT2_13rocblas_fill_17rocblas_diagonal_: ; @_ZN9rocsolver6v33100L8copy_matIfPfS2_NS0_7no_maskEEEviiT0_iilT1_iilT2_13rocblas_fill_17rocblas_diagonal_
; %bb.0:
	s_load_dword s2, s[4:5], 0x54
	s_load_dwordx2 s[0:1], s[4:5], 0x0
	s_waitcnt lgkmcnt(0)
	s_lshr_b32 s3, s2, 16
	s_and_b32 s2, s2, 0xffff
	s_mul_i32 s7, s7, s3
	s_mul_i32 s6, s6, s2
	v_add_u32_e32 v1, s7, v1
	v_add_u32_e32 v0, s6, v0
	v_cmp_gt_u32_e32 vcc, s0, v0
	v_cmp_gt_u32_e64 s[0:1], s1, v1
	s_and_b64 s[0:1], s[0:1], vcc
	s_and_saveexec_b64 s[2:3], s[0:1]
	s_cbranch_execz .LBB2_14
; %bb.1:
	s_load_dwordx2 s[2:3], s[4:5], 0x3c
	s_waitcnt lgkmcnt(0)
	s_cmpk_lt_i32 s2, 0x7a
	s_cbranch_scc1 .LBB2_4
; %bb.2:
	s_cmpk_gt_i32 s2, 0x7a
	s_cbranch_scc0 .LBB2_5
; %bb.3:
	s_cmpk_lg_i32 s2, 0x7b
	s_mov_b64 s[6:7], -1
	s_cselect_b64 s[10:11], -1, 0
	s_cbranch_execz .LBB2_6
	s_branch .LBB2_7
.LBB2_4:
	s_mov_b64 s[10:11], 0
	s_mov_b64 s[6:7], 0
	s_cbranch_execnz .LBB2_8
	s_branch .LBB2_10
.LBB2_5:
	s_mov_b64 s[6:7], 0
	s_mov_b64 s[10:11], 0
.LBB2_6:
	v_cmp_gt_u32_e32 vcc, v0, v1
	v_cmp_le_u32_e64 s[0:1], v0, v1
	s_andn2_b64 s[6:7], s[6:7], exec
	s_and_b64 s[12:13], vcc, exec
	s_andn2_b64 s[10:11], s[10:11], exec
	s_and_b64 s[0:1], s[0:1], exec
	s_or_b64 s[6:7], s[6:7], s[12:13]
	s_or_b64 s[10:11], s[10:11], s[0:1]
.LBB2_7:
	s_branch .LBB2_10
.LBB2_8:
	s_cmpk_eq_i32 s2, 0x79
	s_mov_b64 s[10:11], -1
	s_cbranch_scc0 .LBB2_10
; %bb.9:
	v_cmp_gt_u32_e32 vcc, v1, v0
	v_cmp_le_u32_e64 s[0:1], v1, v0
	s_andn2_b64 s[6:7], s[6:7], exec
	s_and_b64 s[10:11], vcc, exec
	s_or_b64 s[6:7], s[6:7], s[10:11]
	s_orn2_b64 s[10:11], s[0:1], exec
.LBB2_10:
	s_and_saveexec_b64 s[0:1], s[10:11]
; %bb.11:
	s_cmpk_eq_i32 s3, 0x83
	s_cselect_b64 s[2:3], -1, 0
	v_cmp_eq_u32_e32 vcc, v0, v1
	s_and_b64 s[2:3], s[2:3], vcc
	s_andn2_b64 s[6:7], s[6:7], exec
	s_and_b64 s[2:3], s[2:3], exec
	s_or_b64 s[6:7], s[6:7], s[2:3]
; %bb.12:
	s_or_b64 exec, exec, s[0:1]
	s_and_b64 exec, exec, s[6:7]
	s_cbranch_execz .LBB2_14
; %bb.13:
	s_load_dwordx8 s[12:19], s[4:5], 0x8
	s_waitcnt lgkmcnt(0)
	s_mul_i32 s3, s17, s8
	s_mul_hi_u32 s6, s16, s8
	s_mul_i32 s2, s16, s8
	s_add_i32 s3, s6, s3
	s_ashr_i32 s1, s14, 31
	s_lshl_b64 s[2:3], s[2:3], 2
	s_add_u32 s6, s12, s2
	s_addc_u32 s7, s13, s3
	v_mad_u64_u32 v[2:3], s[2:3], v1, s15, v[0:1]
	s_mov_b32 s0, s14
	s_lshl_b64 s[0:1], s[0:1], 2
	v_mov_b32_e32 v3, 0
	s_add_u32 s0, s6, s0
	v_lshlrev_b64 v[4:5], 2, v[2:3]
	s_addc_u32 s1, s7, s1
	v_mov_b32_e32 v2, s1
	v_add_co_u32_e32 v4, vcc, s0, v4
	v_addc_co_u32_e32 v5, vcc, v2, v5, vcc
	global_load_dword v2, v[4:5], off
	s_load_dwordx4 s[0:3], s[4:5], 0x28
	s_waitcnt lgkmcnt(0)
	s_ashr_i32 s5, s0, 31
	s_mov_b32 s4, s0
	s_mul_i32 s0, s3, s8
	s_mul_hi_u32 s3, s2, s8
	s_add_i32 s3, s3, s0
	s_mul_i32 s2, s2, s8
	v_mad_u64_u32 v[0:1], s[0:1], v1, s1, v[0:1]
	s_lshl_b64 s[2:3], s[2:3], 2
	s_add_u32 s6, s18, s2
	s_addc_u32 s7, s19, s3
	s_lshl_b64 s[2:3], s[4:5], 2
	v_mov_b32_e32 v1, v3
	s_add_u32 s0, s6, s2
	v_lshlrev_b64 v[0:1], 2, v[0:1]
	s_addc_u32 s1, s7, s3
	v_mov_b32_e32 v3, s1
	v_add_co_u32_e32 v0, vcc, s0, v0
	v_addc_co_u32_e32 v1, vcc, v3, v1, vcc
	s_waitcnt vmcnt(0)
	global_store_dword v[0:1], v2, off
.LBB2_14:
	s_endpgm
	.section	.rodata,"a",@progbits
	.p2align	6, 0x0
	.amdhsa_kernel _ZN9rocsolver6v33100L8copy_matIfPfS2_NS0_7no_maskEEEviiT0_iilT1_iilT2_13rocblas_fill_17rocblas_diagonal_
		.amdhsa_group_segment_fixed_size 0
		.amdhsa_private_segment_fixed_size 0
		.amdhsa_kernarg_size 328
		.amdhsa_user_sgpr_count 6
		.amdhsa_user_sgpr_private_segment_buffer 1
		.amdhsa_user_sgpr_dispatch_ptr 0
		.amdhsa_user_sgpr_queue_ptr 0
		.amdhsa_user_sgpr_kernarg_segment_ptr 1
		.amdhsa_user_sgpr_dispatch_id 0
		.amdhsa_user_sgpr_flat_scratch_init 0
		.amdhsa_user_sgpr_private_segment_size 0
		.amdhsa_uses_dynamic_stack 0
		.amdhsa_system_sgpr_private_segment_wavefront_offset 0
		.amdhsa_system_sgpr_workgroup_id_x 1
		.amdhsa_system_sgpr_workgroup_id_y 1
		.amdhsa_system_sgpr_workgroup_id_z 1
		.amdhsa_system_sgpr_workgroup_info 0
		.amdhsa_system_vgpr_workitem_id 1
		.amdhsa_next_free_vgpr 6
		.amdhsa_next_free_sgpr 20
		.amdhsa_reserve_vcc 1
		.amdhsa_reserve_flat_scratch 0
		.amdhsa_float_round_mode_32 0
		.amdhsa_float_round_mode_16_64 0
		.amdhsa_float_denorm_mode_32 3
		.amdhsa_float_denorm_mode_16_64 3
		.amdhsa_dx10_clamp 1
		.amdhsa_ieee_mode 1
		.amdhsa_fp16_overflow 0
		.amdhsa_exception_fp_ieee_invalid_op 0
		.amdhsa_exception_fp_denorm_src 0
		.amdhsa_exception_fp_ieee_div_zero 0
		.amdhsa_exception_fp_ieee_overflow 0
		.amdhsa_exception_fp_ieee_underflow 0
		.amdhsa_exception_fp_ieee_inexact 0
		.amdhsa_exception_int_div_zero 0
	.end_amdhsa_kernel
	.section	.text._ZN9rocsolver6v33100L8copy_matIfPfS2_NS0_7no_maskEEEviiT0_iilT1_iilT2_13rocblas_fill_17rocblas_diagonal_,"axG",@progbits,_ZN9rocsolver6v33100L8copy_matIfPfS2_NS0_7no_maskEEEviiT0_iilT1_iilT2_13rocblas_fill_17rocblas_diagonal_,comdat
.Lfunc_end2:
	.size	_ZN9rocsolver6v33100L8copy_matIfPfS2_NS0_7no_maskEEEviiT0_iilT1_iilT2_13rocblas_fill_17rocblas_diagonal_, .Lfunc_end2-_ZN9rocsolver6v33100L8copy_matIfPfS2_NS0_7no_maskEEEviiT0_iilT1_iilT2_13rocblas_fill_17rocblas_diagonal_
                                        ; -- End function
	.set _ZN9rocsolver6v33100L8copy_matIfPfS2_NS0_7no_maskEEEviiT0_iilT1_iilT2_13rocblas_fill_17rocblas_diagonal_.num_vgpr, 6
	.set _ZN9rocsolver6v33100L8copy_matIfPfS2_NS0_7no_maskEEEviiT0_iilT1_iilT2_13rocblas_fill_17rocblas_diagonal_.num_agpr, 0
	.set _ZN9rocsolver6v33100L8copy_matIfPfS2_NS0_7no_maskEEEviiT0_iilT1_iilT2_13rocblas_fill_17rocblas_diagonal_.numbered_sgpr, 20
	.set _ZN9rocsolver6v33100L8copy_matIfPfS2_NS0_7no_maskEEEviiT0_iilT1_iilT2_13rocblas_fill_17rocblas_diagonal_.num_named_barrier, 0
	.set _ZN9rocsolver6v33100L8copy_matIfPfS2_NS0_7no_maskEEEviiT0_iilT1_iilT2_13rocblas_fill_17rocblas_diagonal_.private_seg_size, 0
	.set _ZN9rocsolver6v33100L8copy_matIfPfS2_NS0_7no_maskEEEviiT0_iilT1_iilT2_13rocblas_fill_17rocblas_diagonal_.uses_vcc, 1
	.set _ZN9rocsolver6v33100L8copy_matIfPfS2_NS0_7no_maskEEEviiT0_iilT1_iilT2_13rocblas_fill_17rocblas_diagonal_.uses_flat_scratch, 0
	.set _ZN9rocsolver6v33100L8copy_matIfPfS2_NS0_7no_maskEEEviiT0_iilT1_iilT2_13rocblas_fill_17rocblas_diagonal_.has_dyn_sized_stack, 0
	.set _ZN9rocsolver6v33100L8copy_matIfPfS2_NS0_7no_maskEEEviiT0_iilT1_iilT2_13rocblas_fill_17rocblas_diagonal_.has_recursion, 0
	.set _ZN9rocsolver6v33100L8copy_matIfPfS2_NS0_7no_maskEEEviiT0_iilT1_iilT2_13rocblas_fill_17rocblas_diagonal_.has_indirect_call, 0
	.section	.AMDGPU.csdata,"",@progbits
; Kernel info:
; codeLenInByte = 476
; TotalNumSgprs: 24
; NumVgprs: 6
; ScratchSize: 0
; MemoryBound: 0
; FloatMode: 240
; IeeeMode: 1
; LDSByteSize: 0 bytes/workgroup (compile time only)
; SGPRBlocks: 2
; VGPRBlocks: 1
; NumSGPRsForWavesPerEU: 24
; NumVGPRsForWavesPerEU: 6
; Occupancy: 10
; WaveLimiterHint : 0
; COMPUTE_PGM_RSRC2:SCRATCH_EN: 0
; COMPUTE_PGM_RSRC2:USER_SGPR: 6
; COMPUTE_PGM_RSRC2:TRAP_HANDLER: 0
; COMPUTE_PGM_RSRC2:TGID_X_EN: 1
; COMPUTE_PGM_RSRC2:TGID_Y_EN: 1
; COMPUTE_PGM_RSRC2:TGID_Z_EN: 1
; COMPUTE_PGM_RSRC2:TIDIG_COMP_CNT: 1
	.section	.text._ZN9rocsolver6v33100L18stebz_case1_kernelIfPfEEv15rocblas_erange_T_S4_T0_ilPiS6_PS4_lS6_lS6_li,"axG",@progbits,_ZN9rocsolver6v33100L18stebz_case1_kernelIfPfEEv15rocblas_erange_T_S4_T0_ilPiS6_PS4_lS6_lS6_li,comdat
	.globl	_ZN9rocsolver6v33100L18stebz_case1_kernelIfPfEEv15rocblas_erange_T_S4_T0_ilPiS6_PS4_lS6_lS6_li ; -- Begin function _ZN9rocsolver6v33100L18stebz_case1_kernelIfPfEEv15rocblas_erange_T_S4_T0_ilPiS6_PS4_lS6_lS6_li
	.p2align	8
	.type	_ZN9rocsolver6v33100L18stebz_case1_kernelIfPfEEv15rocblas_erange_T_S4_T0_ilPiS6_PS4_lS6_lS6_li,@function
_ZN9rocsolver6v33100L18stebz_case1_kernelIfPfEEv15rocblas_erange_T_S4_T0_ilPiS6_PS4_lS6_lS6_li: ; @_ZN9rocsolver6v33100L18stebz_case1_kernelIfPfEEv15rocblas_erange_T_S4_T0_ilPiS6_PS4_lS6_lS6_li
; %bb.0:
	s_load_dword s0, s[4:5], 0x7c
	s_load_dword s1, s[4:5], 0x68
	s_waitcnt lgkmcnt(0)
	s_and_b32 s0, s0, 0xffff
	s_mul_i32 s6, s6, s0
	v_add_u32_e32 v0, s6, v0
	v_cmp_gt_i32_e32 vcc, s1, v0
	s_and_saveexec_b64 s[0:1], vcc
	s_cbranch_execz .LBB3_7
; %bb.1:
	s_load_dwordx16 s[8:23], s[4:5], 0x20
	s_load_dword s0, s[4:5], 0x18
	v_ashrrev_i32_e32 v1, 31, v0
	v_mov_b32_e32 v9, 1
	s_waitcnt lgkmcnt(0)
	v_mul_lo_u32 v4, s9, v0
	v_mul_lo_u32 v5, s8, v1
	v_mad_u64_u32 v[2:3], s[2:3], s8, v0, 0
	s_load_dwordx2 s[2:3], s[4:5], 0x10
	s_ashr_i32 s1, s0, 31
	v_add3_u32 v3, v3, v5, v4
	v_lshlrev_b64 v[2:3], 2, v[2:3]
	s_lshl_b64 s[0:1], s[0:1], 2
	s_waitcnt lgkmcnt(0)
	v_mov_b32_e32 v4, s3
	v_add_co_u32_e32 v2, vcc, s2, v2
	v_addc_co_u32_e32 v3, vcc, v4, v3, vcc
	v_mov_b32_e32 v4, s1
	v_add_co_u32_e32 v2, vcc, s0, v2
	v_addc_co_u32_e32 v3, vcc, v3, v4, vcc
	global_load_dword v4, v[2:3], off
	s_load_dwordx2 s[0:1], s[4:5], 0x60
	v_mov_b32_e32 v8, s13
	s_waitcnt lgkmcnt(0)
	v_mul_lo_u32 v5, s1, v0
	v_mul_lo_u32 v6, s0, v1
	v_mad_u64_u32 v[2:3], s[0:1], s0, v0, 0
	s_load_dwordx4 s[0:3], s[4:5], 0x0
	v_add3_u32 v3, v3, v6, v5
	v_lshlrev_b64 v[2:3], 2, v[2:3]
	v_mov_b32_e32 v6, s23
	v_add_co_u32_e32 v5, vcc, s22, v2
	v_addc_co_u32_e32 v6, vcc, v6, v3, vcc
	v_lshlrev_b64 v[2:3], 2, v[0:1]
	s_waitcnt lgkmcnt(0)
	s_cmpk_lg_i32 s0, 0xe8
	v_add_co_u32_e32 v7, vcc, s12, v2
	v_addc_co_u32_e32 v8, vcc, v8, v3, vcc
	s_cselect_b64 s[4:5], -1, 0
	s_and_b64 vcc, exec, s[4:5]
	global_store_dword v[7:8], v9, off
	global_store_dword v[5:6], v9, off
	s_cbranch_vccnz .LBB3_3
; %bb.2:
	s_waitcnt vmcnt(2)
	v_cmp_nge_f32_e32 vcc, s1, v4
	v_cmp_nlt_f32_e64 s[0:1], s2, v4
	s_and_b64 s[2:3], vcc, s[0:1]
	s_andn2_b64 s[4:5], s[4:5], exec
	s_and_b64 s[2:3], s[2:3], exec
	s_mov_b64 s[0:1], -1
	s_or_b64 s[4:5], s[4:5], s[2:3]
	s_and_saveexec_b64 s[2:3], s[4:5]
	s_xor_b64 s[2:3], exec, s[2:3]
	s_cbranch_execnz .LBB3_4
	s_branch .LBB3_5
.LBB3_3:
	s_mov_b64 s[0:1], 0
	s_and_saveexec_b64 s[2:3], s[4:5]
	s_xor_b64 s[2:3], exec, s[2:3]
	s_cbranch_execz .LBB3_5
.LBB3_4:
	v_mul_lo_u32 v7, s17, v0
	v_mul_lo_u32 v8, s16, v1
	v_mad_u64_u32 v[5:6], s[4:5], s16, v0, 0
	v_mul_lo_u32 v9, s20, v1
	s_andn2_b64 s[0:1], s[0:1], exec
	v_add3_u32 v6, v6, v8, v7
	v_mul_lo_u32 v8, s21, v0
	v_mad_u64_u32 v[0:1], s[4:5], s20, v0, 0
	v_lshlrev_b64 v[5:6], 2, v[5:6]
	v_mov_b32_e32 v7, s15
	v_add3_u32 v1, v1, v9, v8
	v_add_co_u32_e32 v5, vcc, s14, v5
	v_lshlrev_b64 v[0:1], 2, v[0:1]
	v_addc_co_u32_e32 v6, vcc, v7, v6, vcc
	v_mov_b32_e32 v7, s19
	v_add_co_u32_e32 v0, vcc, s18, v0
	v_addc_co_u32_e32 v1, vcc, v7, v1, vcc
	v_mov_b32_e32 v8, s11
	v_add_co_u32_e32 v7, vcc, s10, v2
	v_addc_co_u32_e32 v8, vcc, v8, v3, vcc
	v_mov_b32_e32 v9, 1
	global_store_dword v[7:8], v9, off
	s_waitcnt vmcnt(3)
	global_store_dword v[5:6], v4, off
	global_store_dword v[0:1], v9, off
.LBB3_5:
	s_or_b64 exec, exec, s[2:3]
	s_and_b64 exec, exec, s[0:1]
	s_cbranch_execz .LBB3_7
; %bb.6:
	v_mov_b32_e32 v1, s11
	v_add_co_u32_e32 v0, vcc, s10, v2
	v_addc_co_u32_e32 v1, vcc, v1, v3, vcc
	v_mov_b32_e32 v2, 0
	global_store_dword v[0:1], v2, off
.LBB3_7:
	s_endpgm
	.section	.rodata,"a",@progbits
	.p2align	6, 0x0
	.amdhsa_kernel _ZN9rocsolver6v33100L18stebz_case1_kernelIfPfEEv15rocblas_erange_T_S4_T0_ilPiS6_PS4_lS6_lS6_li
		.amdhsa_group_segment_fixed_size 0
		.amdhsa_private_segment_fixed_size 0
		.amdhsa_kernarg_size 368
		.amdhsa_user_sgpr_count 6
		.amdhsa_user_sgpr_private_segment_buffer 1
		.amdhsa_user_sgpr_dispatch_ptr 0
		.amdhsa_user_sgpr_queue_ptr 0
		.amdhsa_user_sgpr_kernarg_segment_ptr 1
		.amdhsa_user_sgpr_dispatch_id 0
		.amdhsa_user_sgpr_flat_scratch_init 0
		.amdhsa_user_sgpr_private_segment_size 0
		.amdhsa_uses_dynamic_stack 0
		.amdhsa_system_sgpr_private_segment_wavefront_offset 0
		.amdhsa_system_sgpr_workgroup_id_x 1
		.amdhsa_system_sgpr_workgroup_id_y 0
		.amdhsa_system_sgpr_workgroup_id_z 0
		.amdhsa_system_sgpr_workgroup_info 0
		.amdhsa_system_vgpr_workitem_id 0
		.amdhsa_next_free_vgpr 10
		.amdhsa_next_free_sgpr 24
		.amdhsa_reserve_vcc 1
		.amdhsa_reserve_flat_scratch 0
		.amdhsa_float_round_mode_32 0
		.amdhsa_float_round_mode_16_64 0
		.amdhsa_float_denorm_mode_32 3
		.amdhsa_float_denorm_mode_16_64 3
		.amdhsa_dx10_clamp 1
		.amdhsa_ieee_mode 1
		.amdhsa_fp16_overflow 0
		.amdhsa_exception_fp_ieee_invalid_op 0
		.amdhsa_exception_fp_denorm_src 0
		.amdhsa_exception_fp_ieee_div_zero 0
		.amdhsa_exception_fp_ieee_overflow 0
		.amdhsa_exception_fp_ieee_underflow 0
		.amdhsa_exception_fp_ieee_inexact 0
		.amdhsa_exception_int_div_zero 0
	.end_amdhsa_kernel
	.section	.text._ZN9rocsolver6v33100L18stebz_case1_kernelIfPfEEv15rocblas_erange_T_S4_T0_ilPiS6_PS4_lS6_lS6_li,"axG",@progbits,_ZN9rocsolver6v33100L18stebz_case1_kernelIfPfEEv15rocblas_erange_T_S4_T0_ilPiS6_PS4_lS6_lS6_li,comdat
.Lfunc_end3:
	.size	_ZN9rocsolver6v33100L18stebz_case1_kernelIfPfEEv15rocblas_erange_T_S4_T0_ilPiS6_PS4_lS6_lS6_li, .Lfunc_end3-_ZN9rocsolver6v33100L18stebz_case1_kernelIfPfEEv15rocblas_erange_T_S4_T0_ilPiS6_PS4_lS6_lS6_li
                                        ; -- End function
	.set _ZN9rocsolver6v33100L18stebz_case1_kernelIfPfEEv15rocblas_erange_T_S4_T0_ilPiS6_PS4_lS6_lS6_li.num_vgpr, 10
	.set _ZN9rocsolver6v33100L18stebz_case1_kernelIfPfEEv15rocblas_erange_T_S4_T0_ilPiS6_PS4_lS6_lS6_li.num_agpr, 0
	.set _ZN9rocsolver6v33100L18stebz_case1_kernelIfPfEEv15rocblas_erange_T_S4_T0_ilPiS6_PS4_lS6_lS6_li.numbered_sgpr, 24
	.set _ZN9rocsolver6v33100L18stebz_case1_kernelIfPfEEv15rocblas_erange_T_S4_T0_ilPiS6_PS4_lS6_lS6_li.num_named_barrier, 0
	.set _ZN9rocsolver6v33100L18stebz_case1_kernelIfPfEEv15rocblas_erange_T_S4_T0_ilPiS6_PS4_lS6_lS6_li.private_seg_size, 0
	.set _ZN9rocsolver6v33100L18stebz_case1_kernelIfPfEEv15rocblas_erange_T_S4_T0_ilPiS6_PS4_lS6_lS6_li.uses_vcc, 1
	.set _ZN9rocsolver6v33100L18stebz_case1_kernelIfPfEEv15rocblas_erange_T_S4_T0_ilPiS6_PS4_lS6_lS6_li.uses_flat_scratch, 0
	.set _ZN9rocsolver6v33100L18stebz_case1_kernelIfPfEEv15rocblas_erange_T_S4_T0_ilPiS6_PS4_lS6_lS6_li.has_dyn_sized_stack, 0
	.set _ZN9rocsolver6v33100L18stebz_case1_kernelIfPfEEv15rocblas_erange_T_S4_T0_ilPiS6_PS4_lS6_lS6_li.has_recursion, 0
	.set _ZN9rocsolver6v33100L18stebz_case1_kernelIfPfEEv15rocblas_erange_T_S4_T0_ilPiS6_PS4_lS6_lS6_li.has_indirect_call, 0
	.section	.AMDGPU.csdata,"",@progbits
; Kernel info:
; codeLenInByte = 556
; TotalNumSgprs: 28
; NumVgprs: 10
; ScratchSize: 0
; MemoryBound: 0
; FloatMode: 240
; IeeeMode: 1
; LDSByteSize: 0 bytes/workgroup (compile time only)
; SGPRBlocks: 3
; VGPRBlocks: 2
; NumSGPRsForWavesPerEU: 28
; NumVGPRsForWavesPerEU: 10
; Occupancy: 10
; WaveLimiterHint : 0
; COMPUTE_PGM_RSRC2:SCRATCH_EN: 0
; COMPUTE_PGM_RSRC2:USER_SGPR: 6
; COMPUTE_PGM_RSRC2:TRAP_HANDLER: 0
; COMPUTE_PGM_RSRC2:TGID_X_EN: 1
; COMPUTE_PGM_RSRC2:TGID_Y_EN: 0
; COMPUTE_PGM_RSRC2:TGID_Z_EN: 0
; COMPUTE_PGM_RSRC2:TIDIG_COMP_CNT: 0
	.section	.text._ZN9rocsolver6v33100L22stebz_splitting_kernelIfPfEEv15rocblas_erange_iT_S4_iiT0_iiS5_iiPiPS4_lS6_lS6_S7_S7_S7_S7_S6_S4_S4_,"axG",@progbits,_ZN9rocsolver6v33100L22stebz_splitting_kernelIfPfEEv15rocblas_erange_iT_S4_iiT0_iiS5_iiPiPS4_lS6_lS6_S7_S7_S7_S7_S6_S4_S4_,comdat
	.globl	_ZN9rocsolver6v33100L22stebz_splitting_kernelIfPfEEv15rocblas_erange_iT_S4_iiT0_iiS5_iiPiPS4_lS6_lS6_S7_S7_S7_S7_S6_S4_S4_ ; -- Begin function _ZN9rocsolver6v33100L22stebz_splitting_kernelIfPfEEv15rocblas_erange_iT_S4_iiT0_iiS5_iiPiPS4_lS6_lS6_S7_S7_S7_S7_S6_S4_S4_
	.p2align	8
	.type	_ZN9rocsolver6v33100L22stebz_splitting_kernelIfPfEEv15rocblas_erange_iT_S4_iiT0_iiS5_iiPiPS4_lS6_lS6_S7_S7_S7_S7_S6_S4_S4_,@function
_ZN9rocsolver6v33100L22stebz_splitting_kernelIfPfEEv15rocblas_erange_iT_S4_iiT0_iiS5_iiPiPS4_lS6_lS6_S7_S7_S7_S7_S6_S4_S4_: ; @_ZN9rocsolver6v33100L22stebz_splitting_kernelIfPfEEv15rocblas_erange_iT_S4_iiT0_iiS5_iiPiPS4_lS6_lS6_S7_S7_S7_S7_S6_S4_S4_
; %bb.0:
	s_load_dwordx4 s[24:27], s[4:5], 0x0
	s_load_dwordx2 s[36:37], s[4:5], 0x10
	s_mov_b32 s34, s7
	v_mov_b32_e32 v3, 0
	v_lshlrev_b32_e32 v14, 2, v0
	s_waitcnt lgkmcnt(0)
	s_add_i32 s33, s25, -1
	s_ashr_i32 s0, s33, 31
	s_lshr_b32 s0, s0, 24
	s_add_i32 s0, s33, s0
	s_ashr_i32 s1, s0, 8
	s_and_b32 s0, s0, 0xffffff00
	s_sub_i32 s0, s33, s0
	v_mov_b32_e32 v1, s1
	v_cmp_gt_i32_e32 vcc, s0, v0
	v_addc_co_u32_e32 v16, vcc, 0, v1, vcc
	v_cmp_eq_u32_e64 s[0:1], 0, v0
	v_cmp_ne_u32_e32 vcc, 0, v0
	v_add_u32_e32 v15, -1, v0
	ds_write_b32 v14, v16
	s_waitcnt lgkmcnt(0)
	s_barrier
	s_and_saveexec_b64 s[6:7], vcc
	s_cbranch_execz .LBB4_10
; %bb.1:
	v_cmp_lt_u32_e64 s[2:3], 6, v15
	v_mov_b32_e32 v3, 0
	v_mov_b32_e32 v1, 0
	s_and_saveexec_b64 s[8:9], s[2:3]
	s_cbranch_execz .LBB4_5
; %bb.2:
	v_and_b32_e32 v1, 0xf8, v0
	s_mov_b32 s12, 0
	s_mov_b64 s[10:11], 0
	v_mov_b32_e32 v3, 0
	s_mov_b32 s13, 0
.LBB4_3:                                ; =>This Inner Loop Header: Depth=1
	v_mov_b32_e32 v2, s12
	ds_read_b128 v[4:7], v2
	ds_read_b128 v[8:11], v2 offset:16
	s_add_i32 s13, s13, 8
	s_add_i32 s12, s12, 32
	v_cmp_eq_u32_e64 s[2:3], s13, v1
	s_waitcnt lgkmcnt(1)
	v_add_u32_e32 v2, v4, v3
	v_add_u32_e32 v2, v5, v2
	;; [unrolled: 1-line block ×4, first 2 shown]
	s_waitcnt lgkmcnt(0)
	v_add_u32_e32 v2, v8, v2
	v_add_u32_e32 v2, v9, v2
	;; [unrolled: 1-line block ×3, first 2 shown]
	s_or_b64 s[10:11], s[2:3], s[10:11]
	v_add_u32_e32 v3, v11, v2
	s_andn2_b64 exec, exec, s[10:11]
	s_cbranch_execnz .LBB4_3
; %bb.4:
	s_or_b64 exec, exec, s[10:11]
.LBB4_5:
	s_or_b64 exec, exec, s[8:9]
	v_and_b32_e32 v2, 7, v0
	v_cmp_ne_u32_e64 s[2:3], 0, v2
	s_and_saveexec_b64 s[8:9], s[2:3]
	s_cbranch_execz .LBB4_9
; %bb.6:
	v_lshlrev_b32_e32 v1, 2, v1
	s_mov_b64 s[10:11], 0
.LBB4_7:                                ; =>This Inner Loop Header: Depth=1
	ds_read_b32 v4, v1
	v_add_u32_e32 v2, -1, v2
	v_cmp_eq_u32_e64 s[2:3], 0, v2
	v_add_u32_e32 v1, 4, v1
	s_or_b64 s[10:11], s[2:3], s[10:11]
	s_waitcnt lgkmcnt(0)
	v_add_u32_e32 v3, v4, v3
	s_andn2_b64 exec, exec, s[10:11]
	s_cbranch_execnz .LBB4_7
; %bb.8:
	s_or_b64 exec, exec, s[10:11]
.LBB4_9:
	s_or_b64 exec, exec, s[8:9]
.LBB4_10:
	s_or_b64 exec, exec, s[6:7]
	s_load_dwordx4 s[28:31], s[4:5], 0x18
	s_load_dwordx16 s[8:23], s[4:5], 0x38
	s_load_dwordx2 s[38:39], s[4:5], 0x90
	s_mul_i32 s2, s25, s34
	s_ashr_i32 s3, s2, 31
	s_waitcnt lgkmcnt(0)
	s_ashr_i32 s41, s30, 31
	s_mov_b32 s40, s30
	s_mul_i32 s30, s33, s34
	s_ashr_i32 s35, s34, 31
	s_mul_hi_i32 s43, s31, s34
	s_mul_i32 s42, s31, s34
	s_ashr_i32 s31, s30, 31
	s_lshl_b64 s[2:3], s[2:3], 2
	v_ashrrev_i32_e32 v4, 31, v3
	s_add_u32 s2, s18, s2
	v_lshlrev_b64 v[12:13], 2, v[3:4]
	s_addc_u32 s3, s19, s3
	s_mul_hi_u32 s6, s12, s34
	s_mul_i32 s7, s12, s35
	v_mov_b32_e32 v2, s3
	v_add_co_u32_e64 v1, s[2:3], s2, v12
	s_add_i32 s6, s6, s7
	s_mul_i32 s7, s13, s34
	v_addc_co_u32_e64 v2, s[2:3], v2, v13, s[2:3]
	s_add_i32 s19, s6, s7
	s_mul_i32 s18, s12, s34
	v_mov_b32_e32 v4, 0
	v_cmp_lt_i32_e64 s[2:3], 0, v16
	s_and_saveexec_b64 s[6:7], s[2:3]
	s_cbranch_execz .LBB4_16
; %bb.11:
	s_load_dwordx4 s[44:47], s[4:5], 0x28
	v_mov_b32_e32 v17, s39
	s_waitcnt lgkmcnt(0)
	s_ashr_i32 s3, s46, 31
	s_mov_b32 s2, s46
	s_mul_hi_i32 s13, s34, s47
	s_mul_i32 s12, s34, s47
	s_lshl_b64 s[12:13], s[12:13], 2
	s_lshl_b64 s[2:3], s[2:3], 2
	s_add_u32 s2, s12, s2
	s_addc_u32 s3, s13, s3
	s_add_u32 s2, s44, s2
	s_addc_u32 s3, s45, s3
	v_mov_b32_e32 v4, s3
	v_add_co_u32_e64 v6, s[2:3], s2, v12
	v_addc_co_u32_e64 v7, s[2:3], v4, v13, s[2:3]
	s_lshl_b64 s[2:3], s[42:43], 2
	s_lshl_b64 s[12:13], s[40:41], 2
	s_add_u32 s2, s2, s12
	s_addc_u32 s3, s3, s13
	s_add_u32 s2, s28, s2
	s_addc_u32 s3, s29, s3
	v_mov_b32_e32 v4, s3
	v_add_co_u32_e64 v8, s[2:3], s2, v12
	v_addc_co_u32_e64 v9, s[2:3], v4, v13, s[2:3]
	s_lshl_b64 s[2:3], s[30:31], 2
	s_add_u32 s2, s22, s2
	s_addc_u32 s3, s23, s3
	v_mov_b32_e32 v4, s3
	v_add_co_u32_e64 v10, s[2:3], s2, v12
	v_addc_co_u32_e64 v11, s[2:3], v4, v13, s[2:3]
	s_lshl_b64 s[2:3], s[18:19], 2
	s_add_u32 s2, s10, s2
	s_addc_u32 s3, s11, s3
	v_mov_b32_e32 v4, s3
	v_add_co_u32_e64 v12, s[2:3], s2, v12
	v_addc_co_u32_e64 v13, s[2:3], v4, v13, s[2:3]
	v_mov_b32_e32 v4, 0
	s_mov_b64 s[12:13], 0
	s_branch .LBB4_13
.LBB4_12:                               ;   in Loop: Header=BB4_13 Depth=1
	s_or_b64 exec, exec, s[44:45]
	v_add_co_u32_e64 v6, s[2:3], 4, v6
	v_addc_co_u32_e64 v7, s[2:3], 0, v7, s[2:3]
	v_add_co_u32_e64 v8, s[2:3], 4, v8
	v_addc_co_u32_e64 v9, s[2:3], 0, v9, s[2:3]
	global_store_dword v[10:11], v18, off
	global_store_dword v[12:13], v5, off
	v_add_co_u32_e64 v10, s[2:3], 4, v10
	v_add_u32_e32 v16, -1, v16
	v_addc_co_u32_e64 v11, s[2:3], 0, v11, s[2:3]
	v_cmp_eq_u32_e64 s[2:3], 0, v16
	s_or_b64 s[12:13], s[2:3], s[12:13]
	v_add_co_u32_e64 v12, s[2:3], 4, v12
	v_add_u32_e32 v3, 1, v3
	v_addc_co_u32_e64 v13, s[2:3], 0, v13, s[2:3]
	s_andn2_b64 exec, exec, s[12:13]
	s_cbranch_execz .LBB4_15
.LBB4_13:                               ; =>This Inner Loop Header: Depth=1
	global_load_dword v5, v[6:7], off
	global_load_dwordx2 v[19:20], v[8:9], off
	s_waitcnt vmcnt(1)
	v_mul_f32_e32 v18, v5, v5
	s_waitcnt vmcnt(0)
	v_mul_f32_e32 v19, v19, v20
	v_mul_f32_e64 v19, s38, |v19|
	v_fma_f32 v19, s38, v19, v17
	v_cmp_gt_f32_e64 s[2:3], v19, v18
	s_and_saveexec_b64 s[44:45], s[2:3]
	s_cbranch_execz .LBB4_12
; %bb.14:                               ;   in Loop: Header=BB4_13 Depth=1
	v_ashrrev_i32_e32 v5, 31, v4
	v_add_u32_e32 v19, 1, v4
	v_lshlrev_b64 v[4:5], 2, v[4:5]
	v_mov_b32_e32 v18, 0
	v_add_co_u32_e64 v4, s[2:3], v1, v4
	v_addc_co_u32_e64 v5, s[2:3], v2, v5, s[2:3]
	global_store_dword v[4:5], v3, off
	v_mov_b32_e32 v5, 0
	v_mov_b32_e32 v4, v19
	s_branch .LBB4_12
.LBB4_15:
	s_or_b64 exec, exec, s[12:13]
.LBB4_16:
	s_or_b64 exec, exec, s[6:7]
	v_mov_b32_e32 v5, 0
	ds_write_b32 v14, v4
	s_waitcnt vmcnt(0) lgkmcnt(0)
	s_barrier
	s_and_saveexec_b64 s[2:3], vcc
	s_cbranch_execz .LBB4_26
; %bb.17:
	v_cmp_lt_u32_e32 vcc, 6, v15
	v_mov_b32_e32 v5, 0
	v_mov_b32_e32 v3, 0
	s_and_saveexec_b64 s[6:7], vcc
	s_cbranch_execz .LBB4_21
; %bb.18:
	v_and_b32_e32 v3, 0xf8, v0
	s_mov_b32 s44, 0
	s_mov_b64 s[12:13], 0
	v_mov_b32_e32 v5, 0
	s_mov_b32 s45, 0
.LBB4_19:                               ; =>This Inner Loop Header: Depth=1
	v_mov_b32_e32 v10, s44
	ds_read_b128 v[6:9], v10
	ds_read_b128 v[10:13], v10 offset:16
	s_add_i32 s45, s45, 8
	s_add_i32 s44, s44, 32
	v_cmp_eq_u32_e32 vcc, s45, v3
	s_waitcnt lgkmcnt(1)
	v_add_u32_e32 v5, v6, v5
	v_add_u32_e32 v5, v7, v5
	;; [unrolled: 1-line block ×4, first 2 shown]
	s_waitcnt lgkmcnt(0)
	v_add_u32_e32 v5, v10, v5
	v_add_u32_e32 v5, v11, v5
	;; [unrolled: 1-line block ×3, first 2 shown]
	s_or_b64 s[12:13], vcc, s[12:13]
	v_add_u32_e32 v5, v13, v5
	s_andn2_b64 exec, exec, s[12:13]
	s_cbranch_execnz .LBB4_19
; %bb.20:
	s_or_b64 exec, exec, s[12:13]
.LBB4_21:
	s_or_b64 exec, exec, s[6:7]
	v_and_b32_e32 v6, 7, v0
	v_cmp_ne_u32_e32 vcc, 0, v6
	s_and_saveexec_b64 s[6:7], vcc
	s_cbranch_execz .LBB4_25
; %bb.22:
	v_lshlrev_b32_e32 v3, 2, v3
	s_mov_b64 s[12:13], 0
.LBB4_23:                               ; =>This Inner Loop Header: Depth=1
	ds_read_b32 v7, v3
	v_add_u32_e32 v6, -1, v6
	v_cmp_eq_u32_e32 vcc, 0, v6
	v_add_u32_e32 v3, 4, v3
	s_or_b64 s[12:13], vcc, s[12:13]
	s_waitcnt lgkmcnt(0)
	v_add_u32_e32 v5, v7, v5
	s_andn2_b64 exec, exec, s[12:13]
	s_cbranch_execnz .LBB4_23
; %bb.24:
	s_or_b64 exec, exec, s[12:13]
.LBB4_25:
	s_or_b64 exec, exec, s[6:7]
.LBB4_26:
	s_or_b64 exec, exec, s[2:3]
	s_mul_i32 s2, s16, s35
	s_mul_hi_u32 s3, s16, s34
	s_add_i32 s2, s3, s2
	s_mul_i32 s3, s17, s34
	s_add_i32 s7, s2, s3
	s_mul_i32 s6, s16, s34
	v_cmp_lt_i32_e32 vcc, 0, v4
	s_and_saveexec_b64 s[2:3], vcc
	s_cbranch_execz .LBB4_29
; %bb.27:
	s_lshl_b64 s[12:13], s[6:7], 2
	v_ashrrev_i32_e32 v6, 31, v5
	v_lshlrev_b64 v[6:7], 2, v[5:6]
	s_add_u32 s12, s14, s12
	s_addc_u32 s13, s15, s13
	v_mov_b32_e32 v3, s13
	v_add_co_u32_e32 v6, vcc, s12, v6
	v_addc_co_u32_e32 v7, vcc, v3, v7, vcc
	s_mov_b64 s[12:13], 0
	v_mov_b32_e32 v3, v4
.LBB4_28:                               ; =>This Inner Loop Header: Depth=1
	global_load_dword v8, v[1:2], off
	v_add_co_u32_e32 v1, vcc, 4, v1
	v_add_u32_e32 v3, -1, v3
	v_addc_co_u32_e32 v2, vcc, 0, v2, vcc
	v_cmp_eq_u32_e32 vcc, 0, v3
	s_or_b64 s[12:13], vcc, s[12:13]
	s_waitcnt vmcnt(0)
	v_add_u32_e32 v8, 1, v8
	global_store_dword v[6:7], v8, off
	v_add_co_u32_e32 v6, vcc, 4, v6
	v_addc_co_u32_e32 v7, vcc, 0, v7, vcc
	s_andn2_b64 exec, exec, s[12:13]
	s_cbranch_execnz .LBB4_28
.LBB4_29:
	s_or_b64 exec, exec, s[2:3]
	s_movk_i32 s2, 0xff
	v_cmp_eq_u32_e64 s[2:3], s2, v0
	s_and_saveexec_b64 s[12:13], s[2:3]
	s_cbranch_execz .LBB4_31
; %bb.30:
	s_lshl_b64 s[16:17], s[34:35], 2
	s_add_u32 s8, s8, s16
	v_add_u32_e32 v1, v5, v4
	s_addc_u32 s9, s9, s17
	s_lshl_b64 s[6:7], s[6:7], 2
	v_ashrrev_i32_e32 v2, 31, v1
	s_add_u32 s6, s14, s6
	v_lshlrev_b64 v[2:3], 2, v[1:2]
	s_addc_u32 s7, s15, s7
	v_mov_b32_e32 v4, s7
	v_add_co_u32_e32 v2, vcc, s6, v2
	v_addc_co_u32_e32 v3, vcc, v4, v3, vcc
	v_mov_b32_e32 v4, s25
	v_mov_b32_e32 v6, 0
	v_add_u32_e32 v1, 1, v1
	global_store_dword v[2:3], v4, off
	global_store_dword v6, v1, s[8:9]
.LBB4_31:
	s_or_b64 exec, exec, s[12:13]
	v_cmp_gt_i32_e32 vcc, s33, v0
	v_mov_b32_e32 v3, 0
	v_bfrev_b32_e32 v4, -2
	s_waitcnt vmcnt(0)
	s_barrier
	s_and_saveexec_b64 s[8:9], vcc
	s_cbranch_execz .LBB4_35
; %bb.32:
	s_lshl_b64 s[6:7], s[30:31], 2
	s_add_u32 s6, s22, s6
	s_addc_u32 s7, s23, s7
	v_mov_b32_e32 v2, s7
	v_add_co_u32_e32 v1, vcc, s6, v14
	v_mov_b32_e32 v3, 0
	v_addc_co_u32_e32 v2, vcc, 0, v2, vcc
	v_bfrev_b32_e32 v4, -2
	s_mov_b64 s[12:13], 0
	s_brev_b32 s14, -2
	v_mov_b32_e32 v5, v0
.LBB4_33:                               ; =>This Inner Loop Header: Depth=1
	global_load_dword v6, v[1:2], off
	v_add_co_u32_e32 v1, vcc, 0x400, v1
	v_cmp_eq_u32_e64 s[6:7], s14, v4
	v_add_u32_e32 v7, 1, v5
	v_add_u32_e32 v5, 0x100, v5
	v_addc_co_u32_e32 v2, vcc, 0, v2, vcc
	v_cmp_le_i32_e32 vcc, s33, v5
	s_waitcnt vmcnt(0)
	v_cmp_lt_f32_e64 s[16:17], v3, |v6|
	s_or_b64 s[6:7], s[16:17], s[6:7]
	v_cndmask_b32_e64 v3, v3, |v6|, s[6:7]
	s_or_b64 s[12:13], vcc, s[12:13]
	v_cndmask_b32_e64 v4, v4, v7, s[6:7]
	s_andn2_b64 exec, exec, s[12:13]
	s_cbranch_execnz .LBB4_33
; %bb.34:
	s_or_b64 exec, exec, s[12:13]
.LBB4_35:
	s_or_b64 exec, exec, s[8:9]
	s_cmp_lt_i32 s25, 3
	ds_write_b32 v14, v3 offset:1024
	ds_write_b32 v14, v4
	s_waitcnt lgkmcnt(0)
	s_barrier
	s_cbranch_scc1 .LBB4_70
; %bb.36:
	s_movk_i32 s6, 0x80
	v_or_b32_e32 v1, 0x400, v14
	v_cmp_gt_u32_e32 vcc, s6, v0
	s_and_saveexec_b64 s[8:9], vcc
	s_cbranch_execz .LBB4_42
; %bb.37:
	ds_read_b32 v2, v1 offset:512
	ds_read_b32 v5, v14 offset:512
	s_waitcnt lgkmcnt(1)
	v_cmp_lt_f32_e64 s[12:13], v3, v2
	v_cmp_nlt_f32_e32 vcc, v3, v2
	s_and_saveexec_b64 s[14:15], vcc
	s_cbranch_execz .LBB4_39
; %bb.38:
	v_cmp_eq_f32_e32 vcc, v3, v2
	s_waitcnt lgkmcnt(0)
	v_cmp_gt_i32_e64 s[6:7], v4, v5
	s_and_b64 s[6:7], vcc, s[6:7]
	s_andn2_b64 s[12:13], s[12:13], exec
	s_and_b64 s[6:7], s[6:7], exec
	s_or_b64 s[12:13], s[12:13], s[6:7]
.LBB4_39:
	s_or_b64 exec, exec, s[14:15]
	s_and_saveexec_b64 s[6:7], s[12:13]
	s_cbranch_execz .LBB4_41
; %bb.40:
	s_waitcnt lgkmcnt(0)
	v_mov_b32_e32 v4, v5
	v_mov_b32_e32 v3, v2
	ds_write_b32 v1, v2
	ds_write_b32 v14, v5
.LBB4_41:
	s_or_b64 exec, exec, s[6:7]
.LBB4_42:
	s_or_b64 exec, exec, s[8:9]
	v_cmp_gt_u32_e32 vcc, 64, v0
	s_waitcnt lgkmcnt(0)
	s_barrier
	s_and_saveexec_b64 s[12:13], vcc
	s_cbranch_execz .LBB4_69
; %bb.43:
	ds_read_b32 v2, v1 offset:256
	ds_read_b32 v5, v14 offset:256
	s_waitcnt lgkmcnt(1)
	v_cmp_lt_f32_e64 s[8:9], v3, v2
	v_cmp_nlt_f32_e32 vcc, v3, v2
	s_and_saveexec_b64 s[14:15], vcc
	s_cbranch_execz .LBB4_45
; %bb.44:
	v_cmp_eq_f32_e32 vcc, v3, v2
	s_waitcnt lgkmcnt(0)
	v_cmp_gt_i32_e64 s[6:7], v4, v5
	s_and_b64 s[6:7], vcc, s[6:7]
	s_andn2_b64 s[8:9], s[8:9], exec
	s_and_b64 s[6:7], s[6:7], exec
	s_or_b64 s[8:9], s[8:9], s[6:7]
.LBB4_45:
	s_or_b64 exec, exec, s[14:15]
	s_and_saveexec_b64 s[6:7], s[8:9]
	s_cbranch_execz .LBB4_47
; %bb.46:
	v_mov_b32_e32 v3, v2
	s_waitcnt lgkmcnt(0)
	v_mov_b32_e32 v4, v5
	ds_write_b32 v1, v2
	ds_write_b32 v14, v5
.LBB4_47:
	s_or_b64 exec, exec, s[6:7]
	ds_read_b32 v2, v1 offset:128
	s_waitcnt lgkmcnt(1)
	ds_read_b32 v5, v14 offset:128
	s_waitcnt lgkmcnt(1)
	v_cmp_lt_f32_e64 s[8:9], v3, v2
	v_cmp_nlt_f32_e32 vcc, v3, v2
	s_and_saveexec_b64 s[14:15], vcc
	s_cbranch_execz .LBB4_49
; %bb.48:
	v_cmp_eq_f32_e32 vcc, v3, v2
	s_waitcnt lgkmcnt(0)
	v_cmp_gt_i32_e64 s[6:7], v4, v5
	s_and_b64 s[6:7], vcc, s[6:7]
	s_andn2_b64 s[8:9], s[8:9], exec
	s_and_b64 s[6:7], s[6:7], exec
	s_or_b64 s[8:9], s[8:9], s[6:7]
.LBB4_49:
	s_or_b64 exec, exec, s[14:15]
	s_and_saveexec_b64 s[6:7], s[8:9]
	s_cbranch_execz .LBB4_51
; %bb.50:
	v_mov_b32_e32 v3, v2
	s_waitcnt lgkmcnt(0)
	v_mov_b32_e32 v4, v5
	ds_write_b32 v1, v2
	ds_write_b32 v14, v5
.LBB4_51:
	s_or_b64 exec, exec, s[6:7]
	ds_read_b32 v2, v1 offset:64
	s_waitcnt lgkmcnt(1)
	;; [unrolled: 28-line block ×6, first 2 shown]
	ds_read_b32 v5, v14 offset:4
	s_waitcnt lgkmcnt(1)
	v_cmp_eq_f32_e64 s[6:7], v3, v2
	s_waitcnt lgkmcnt(0)
	v_cmp_gt_i32_e64 s[8:9], v4, v5
	v_cmp_lt_f32_e32 vcc, v3, v2
	s_and_b64 s[6:7], s[6:7], s[8:9]
	s_or_b64 s[6:7], vcc, s[6:7]
	s_and_b64 exec, exec, s[6:7]
	s_cbranch_execz .LBB4_69
; %bb.68:
	ds_write_b32 v1, v2
	ds_write_b32 v14, v5
.LBB4_69:
	s_or_b64 exec, exec, s[12:13]
.LBB4_70:
	v_mov_b32_e32 v1, 0
	s_waitcnt lgkmcnt(0)
	s_barrier
	ds_read_b32 v1, v1 offset:1024
	s_load_dwordx4 s[12:15], s[4:5], 0x78
	s_load_dwordx2 s[8:9], s[4:5], 0x88
	v_mov_b32_e32 v2, s39
	s_mov_b64 s[4:5], -1
	s_cmpk_lg_i32 s24, 0xe9
	s_waitcnt lgkmcnt(0)
	v_mul_f32_e32 v1, s39, v1
	v_cmp_gt_f32_e32 vcc, s39, v1
	v_cndmask_b32_e32 v6, v1, v2, vcc
	v_mov_b32_e32 v2, s27
	v_mov_b32_e32 v1, s26
	s_cbranch_scc1 .LBB4_119
; %bb.71:
	s_lshl_b64 s[26:27], s[42:43], 2
	s_add_u32 s4, s28, s26
	s_addc_u32 s5, s29, s27
	s_lshl_b64 s[40:41], s[40:41], 2
	s_add_u32 s42, s4, s40
	s_addc_u32 s43, s5, s41
	;; [unrolled: 3-line block ×4, first 2 shown]
	s_lshl_b32 s10, s25, 1
	s_mul_i32 s4, s10, s34
	s_ashr_i32 s5, s4, 31
	s_lshl_b64 s[16:17], s[4:5], 2
	s_add_u32 s6, s14, s16
	s_addc_u32 s7, s15, s17
	s_add_u32 s18, s8, s16
	s_addc_u32 s19, s9, s17
	s_and_saveexec_b64 s[44:45], s[0:1]
	s_cbranch_execz .LBB4_79
; %bb.72:
	v_mov_b32_e32 v5, 0
	global_load_dword v4, v5, s[42:43]
	global_load_dword v2, v5, s[30:31]
	s_cmp_gt_i32 s25, 1
	s_cselect_b64 s[46:47], -1, 0
	s_cmp_lt_i32 s25, 2
	s_waitcnt vmcnt(0)
	v_sub_f32_e64 v1, v4, |v2|
	v_sub_f32_e32 v7, v4, v1
	v_cmp_le_f32_e32 vcc, v7, v6
	v_cndmask_b32_e64 v3, 0, 1, vcc
	s_cbranch_scc1 .LBB4_75
; %bb.73:
	v_cmp_gt_f32_e64 s[4:5], v7, -v6
	s_and_b64 s[4:5], vcc, s[4:5]
	v_cndmask_b32_e64 v7, v7, -v6, s[4:5]
	s_add_u32 s4, s26, s40
	s_addc_u32 s5, s27, s41
	s_add_u32 s4, s28, s4
	s_addc_u32 s5, s29, s5
	s_add_u32 s48, s4, 4
	s_addc_u32 s49, s5, 0
	s_mov_b64 s[50:51], s[22:23]
	s_mov_b32 s11, s33
.LBB4_74:                               ; =>This Inner Loop Header: Depth=1
	global_load_dword v8, v5, s[50:51]
	global_load_dword v9, v5, s[48:49]
	s_add_i32 s11, s11, -1
	s_waitcnt vmcnt(1)
	v_div_scale_f32 v10, s[4:5], v7, v7, v8
	v_div_scale_f32 v11, vcc, v8, v7, v8
	s_waitcnt vmcnt(0)
	v_sub_f32_e32 v9, v9, v1
	v_rcp_f32_e32 v12, v10
	v_fma_f32 v13, -v10, v12, 1.0
	v_fmac_f32_e32 v12, v13, v12
	v_mul_f32_e32 v13, v11, v12
	v_fma_f32 v14, -v10, v13, v11
	v_fmac_f32_e32 v13, v14, v12
	v_fma_f32 v10, -v10, v13, v11
	v_div_fmas_f32 v10, v10, v12, v13
	v_div_fixup_f32 v7, v10, v7, v8
	v_sub_f32_e32 v7, v9, v7
	v_cmp_le_f32_e32 vcc, v7, v6
	v_cmp_gt_f32_e64 s[52:53], v7, -v6
	v_addc_co_u32_e64 v3, s[4:5], 0, v3, vcc
	s_and_b64 s[4:5], vcc, s[52:53]
	s_add_u32 s48, s48, 4
	s_addc_u32 s49, s49, 0
	s_add_u32 s50, s50, 4
	s_addc_u32 s51, s51, 0
	s_cmp_lg_u32 s11, 0
	v_cndmask_b32_e64 v7, v7, -v6, s[4:5]
	s_cbranch_scc1 .LBB4_74
.LBB4_75:
	v_and_b32_e32 v2, 0x7fffffff, v2
	v_add_f32_e32 v2, v4, v2
	v_sub_f32_e32 v5, v4, v2
	v_cmp_le_f32_e64 s[4:5], v5, v6
	s_andn2_b64 vcc, exec, s[46:47]
	v_cndmask_b32_e64 v4, 0, 1, s[4:5]
	s_cbranch_vccnz .LBB4_78
; %bb.76:
	v_cmp_gt_f32_e64 s[46:47], v5, -v6
	s_and_b64 s[4:5], s[4:5], s[46:47]
	v_cndmask_b32_e64 v7, v5, -v6, s[4:5]
	s_add_u32 s4, s26, s40
	s_addc_u32 s5, s27, s41
	s_add_u32 s4, s28, s4
	s_addc_u32 s5, s29, s5
	;; [unrolled: 2-line block ×3, first 2 shown]
	v_mov_b32_e32 v5, 0
	s_mov_b64 s[48:49], s[22:23]
	s_mov_b32 s11, s33
.LBB4_77:                               ; =>This Inner Loop Header: Depth=1
	global_load_dword v8, v5, s[48:49]
	global_load_dword v9, v5, s[46:47]
	s_add_i32 s11, s11, -1
	s_waitcnt vmcnt(1)
	v_div_scale_f32 v10, s[4:5], v7, v7, v8
	v_div_scale_f32 v11, vcc, v8, v7, v8
	s_waitcnt vmcnt(0)
	v_sub_f32_e32 v9, v9, v2
	v_rcp_f32_e32 v12, v10
	v_fma_f32 v13, -v10, v12, 1.0
	v_fmac_f32_e32 v12, v13, v12
	v_mul_f32_e32 v13, v11, v12
	v_fma_f32 v14, -v10, v13, v11
	v_fmac_f32_e32 v13, v14, v12
	v_fma_f32 v10, -v10, v13, v11
	v_div_fmas_f32 v10, v10, v12, v13
	v_div_fixup_f32 v7, v10, v7, v8
	v_sub_f32_e32 v7, v9, v7
	v_cmp_le_f32_e32 vcc, v7, v6
	v_cmp_gt_f32_e64 s[50:51], v7, -v6
	v_addc_co_u32_e64 v4, s[4:5], 0, v4, vcc
	s_and_b64 s[4:5], vcc, s[50:51]
	s_add_u32 s46, s46, 4
	s_addc_u32 s47, s47, 0
	s_add_u32 s48, s48, 4
	s_addc_u32 s49, s49, 0
	s_cmp_lg_u32 s11, 0
	v_cndmask_b32_e64 v7, v7, -v6, s[4:5]
	s_cbranch_scc1 .LBB4_77
.LBB4_78:
	v_mov_b32_e32 v5, 0
	global_store_dwordx2 v5, v[1:2], s[6:7]
	global_store_dwordx2 v5, v[3:4], s[18:19]
.LBB4_79:
	s_or_b64 exec, exec, s[44:45]
	v_add_u32_e32 v0, 1, v0
	v_cmp_gt_i32_e32 vcc, s33, v0
	s_and_saveexec_b64 s[44:45], vcc
	s_cbranch_execz .LBB4_86
; %bb.80:
	s_add_u32 s4, s26, s40
	s_addc_u32 s5, s27, s41
	s_add_u32 s4, s28, s4
	s_addc_u32 s5, s29, s5
	s_add_u32 s46, s4, 4
	s_addc_u32 s47, s5, 0
	s_mov_b64 s[48:49], 0
	v_mov_b32_e32 v1, 0
	v_mov_b32_e32 v7, s43
	;; [unrolled: 1-line block ×3, first 2 shown]
.LBB4_81:                               ; =>This Loop Header: Depth=1
                                        ;     Child Loop BB4_82 Depth 2
                                        ;     Child Loop BB4_84 Depth 2
	v_lshlrev_b64 v[2:3], 2, v[0:1]
	s_mov_b32 s11, 1
	v_add_co_u32_e32 v4, vcc, s42, v2
	v_addc_co_u32_e32 v5, vcc, v7, v3, vcc
	v_add_co_u32_e32 v10, vcc, s30, v2
	v_addc_co_u32_e32 v11, vcc, v8, v3, vcc
	global_load_dwordx2 v[12:13], v[10:11], off offset:-4
	global_load_dword v3, v[4:5], off
	global_load_dword v9, v1, s[42:43]
	s_mov_b64 s[50:51], s[22:23]
	s_mov_b64 s[52:53], s[46:47]
	s_waitcnt vmcnt(2)
	v_add_f32_e64 v5, |v13|, |v12|
	s_waitcnt vmcnt(1)
	v_sub_f32_e32 v4, v3, v5
	s_waitcnt vmcnt(0)
	v_sub_f32_e32 v10, v9, v4
	v_cmp_le_f32_e32 vcc, v10, v6
	v_cmp_gt_f32_e64 s[4:5], v10, -v6
	s_and_b64 s[4:5], vcc, s[4:5]
	v_cndmask_b32_e64 v2, 0, 1, vcc
	v_cndmask_b32_e64 v10, v10, -v6, s[4:5]
.LBB4_82:                               ;   Parent Loop BB4_81 Depth=1
                                        ; =>  This Inner Loop Header: Depth=2
	global_load_dword v11, v1, s[50:51]
	global_load_dword v12, v1, s[52:53]
	s_add_i32 s11, s11, 1
	s_waitcnt vmcnt(1)
	v_div_scale_f32 v13, s[4:5], v10, v10, v11
	v_div_scale_f32 v14, vcc, v11, v10, v11
	s_waitcnt vmcnt(0)
	v_sub_f32_e32 v12, v12, v4
	v_rcp_f32_e32 v15, v13
	v_fma_f32 v16, -v13, v15, 1.0
	v_fmac_f32_e32 v15, v16, v15
	v_mul_f32_e32 v16, v14, v15
	v_fma_f32 v17, -v13, v16, v14
	v_fmac_f32_e32 v16, v17, v15
	v_fma_f32 v13, -v13, v16, v14
	v_div_fmas_f32 v13, v13, v15, v16
	v_div_fixup_f32 v10, v13, v10, v11
	v_sub_f32_e32 v10, v12, v10
	v_cmp_le_f32_e32 vcc, v10, v6
	v_cmp_gt_f32_e64 s[54:55], v10, -v6
	v_addc_co_u32_e64 v2, s[4:5], 0, v2, vcc
	s_and_b64 s[4:5], vcc, s[54:55]
	s_add_u32 s52, s52, 4
	s_addc_u32 s53, s53, 0
	s_add_u32 s50, s50, 4
	s_addc_u32 s51, s51, 0
	s_cmp_lg_u32 s25, s11
	v_cndmask_b32_e64 v10, v10, -v6, s[4:5]
	s_cbranch_scc1 .LBB4_82
; %bb.83:                               ;   in Loop: Header=BB4_81 Depth=1
	v_add_f32_e32 v5, v3, v5
	v_sub_f32_e32 v9, v9, v5
	v_cmp_le_f32_e32 vcc, v9, v6
	v_cmp_gt_f32_e64 s[4:5], v9, -v6
	s_and_b64 s[4:5], vcc, s[4:5]
	v_cndmask_b32_e64 v3, 0, 1, vcc
	v_cndmask_b32_e64 v9, v9, -v6, s[4:5]
	s_mov_b64 s[50:51], s[22:23]
	s_mov_b64 s[52:53], s[46:47]
	s_mov_b32 s11, s33
.LBB4_84:                               ;   Parent Loop BB4_81 Depth=1
                                        ; =>  This Inner Loop Header: Depth=2
	global_load_dword v10, v1, s[50:51]
	global_load_dword v11, v1, s[52:53]
	s_add_i32 s11, s11, -1
	s_waitcnt vmcnt(1)
	v_div_scale_f32 v12, s[4:5], v9, v9, v10
	v_div_scale_f32 v13, vcc, v10, v9, v10
	s_waitcnt vmcnt(0)
	v_sub_f32_e32 v11, v11, v5
	v_rcp_f32_e32 v14, v12
	v_fma_f32 v15, -v12, v14, 1.0
	v_fmac_f32_e32 v14, v15, v14
	v_mul_f32_e32 v15, v13, v14
	v_fma_f32 v16, -v12, v15, v13
	v_fmac_f32_e32 v15, v16, v14
	v_fma_f32 v12, -v12, v15, v13
	v_div_fmas_f32 v12, v12, v14, v15
	v_div_fixup_f32 v9, v12, v9, v10
	v_sub_f32_e32 v9, v11, v9
	v_cmp_le_f32_e32 vcc, v9, v6
	v_cmp_gt_f32_e64 s[54:55], v9, -v6
	v_addc_co_u32_e64 v3, s[4:5], 0, v3, vcc
	s_and_b64 s[4:5], vcc, s[54:55]
	s_add_u32 s52, s52, 4
	s_addc_u32 s53, s53, 0
	s_add_u32 s50, s50, 4
	s_addc_u32 s51, s51, 0
	s_cmp_lg_u32 s11, 0
	v_cndmask_b32_e64 v9, v9, -v6, s[4:5]
	s_cbranch_scc1 .LBB4_84
; %bb.85:                               ;   in Loop: Header=BB4_81 Depth=1
	v_lshlrev_b32_e32 v9, 1, v0
	v_mov_b32_e32 v10, v1
	v_lshlrev_b64 v[9:10], 2, v[9:10]
	v_mov_b32_e32 v12, s7
	v_add_co_u32_e32 v11, vcc, s6, v9
	v_addc_co_u32_e32 v12, vcc, v12, v10, vcc
	v_mov_b32_e32 v13, s19
	v_add_co_u32_e32 v9, vcc, s18, v9
	v_addc_co_u32_e32 v10, vcc, v13, v10, vcc
	v_add_u32_e32 v0, 0x100, v0
	v_cmp_le_i32_e32 vcc, s33, v0
	s_or_b64 s[48:49], vcc, s[48:49]
	global_store_dwordx2 v[11:12], v[4:5], off
	global_store_dwordx2 v[9:10], v[2:3], off
	s_andn2_b64 exec, exec, s[48:49]
	s_cbranch_execnz .LBB4_81
.LBB4_86:
	s_or_b64 exec, exec, s[44:45]
	s_and_saveexec_b64 s[4:5], s[2:3]
	s_cbranch_execz .LBB4_94
; %bb.87:
	s_ashr_i32 s3, s25, 31
	s_mov_b32 s2, s25
	s_lshl_b64 s[2:3], s[2:3], 2
	s_add_u32 s44, s42, s2
	s_addc_u32 s45, s43, s3
	v_mov_b32_e32 v5, 0
	s_add_u32 s2, s30, s2
	s_addc_u32 s3, s31, s3
	global_load_dword v1, v5, s[44:45] offset:-4
	global_load_dword v4, v5, s[2:3] offset:-8
	global_load_dword v3, v5, s[42:43]
	s_cmp_gt_i32 s25, 1
	s_cselect_b64 s[30:31], -1, 0
	s_cmp_lt_i32 s25, 2
	s_waitcnt vmcnt(1)
	v_sub_f32_e64 v0, v1, |v4|
	s_waitcnt vmcnt(0)
	v_sub_f32_e32 v7, v3, v0
	v_cmp_le_f32_e32 vcc, v7, v6
	v_cndmask_b32_e64 v2, 0, 1, vcc
	s_cbranch_scc1 .LBB4_90
; %bb.88:
	v_cmp_gt_f32_e64 s[2:3], v7, -v6
	s_and_b64 s[2:3], vcc, s[2:3]
	v_cndmask_b32_e64 v7, v7, -v6, s[2:3]
	s_add_u32 s2, s26, s40
	s_addc_u32 s3, s27, s41
	s_add_u32 s2, s28, s2
	s_addc_u32 s3, s29, s3
	;; [unrolled: 2-line block ×3, first 2 shown]
	s_mov_b64 s[44:45], s[22:23]
	s_mov_b32 s11, s33
.LBB4_89:                               ; =>This Inner Loop Header: Depth=1
	global_load_dword v8, v5, s[44:45]
	global_load_dword v9, v5, s[42:43]
	s_add_i32 s11, s11, -1
	s_waitcnt vmcnt(1)
	v_div_scale_f32 v10, s[2:3], v7, v7, v8
	v_div_scale_f32 v11, vcc, v8, v7, v8
	s_waitcnt vmcnt(0)
	v_sub_f32_e32 v9, v9, v0
	v_rcp_f32_e32 v12, v10
	v_fma_f32 v13, -v10, v12, 1.0
	v_fmac_f32_e32 v12, v13, v12
	v_mul_f32_e32 v13, v11, v12
	v_fma_f32 v14, -v10, v13, v11
	v_fmac_f32_e32 v13, v14, v12
	v_fma_f32 v10, -v10, v13, v11
	v_div_fmas_f32 v10, v10, v12, v13
	v_div_fixup_f32 v7, v10, v7, v8
	v_sub_f32_e32 v7, v9, v7
	v_cmp_le_f32_e32 vcc, v7, v6
	v_cmp_gt_f32_e64 s[46:47], v7, -v6
	v_addc_co_u32_e64 v2, s[2:3], 0, v2, vcc
	s_and_b64 s[2:3], vcc, s[46:47]
	s_add_u32 s42, s42, 4
	s_addc_u32 s43, s43, 0
	s_add_u32 s44, s44, 4
	s_addc_u32 s45, s45, 0
	s_cmp_lg_u32 s11, 0
	v_cndmask_b32_e64 v7, v7, -v6, s[2:3]
	s_cbranch_scc1 .LBB4_89
.LBB4_90:
	v_and_b32_e32 v4, 0x7fffffff, v4
	v_add_f32_e32 v1, v1, v4
	v_sub_f32_e32 v4, v3, v1
	v_cmp_le_f32_e64 s[2:3], v4, v6
	s_andn2_b64 vcc, exec, s[30:31]
	v_cndmask_b32_e64 v3, 0, 1, s[2:3]
	s_cbranch_vccnz .LBB4_93
; %bb.91:
	v_cmp_gt_f32_e64 s[30:31], v4, -v6
	s_and_b64 s[2:3], s[2:3], s[30:31]
	v_cndmask_b32_e64 v5, v4, -v6, s[2:3]
	s_add_u32 s2, s26, s40
	s_addc_u32 s3, s27, s41
	s_add_u32 s2, s28, s2
	s_addc_u32 s3, s29, s3
	;; [unrolled: 2-line block ×3, first 2 shown]
	v_mov_b32_e32 v4, 0
.LBB4_92:                               ; =>This Inner Loop Header: Depth=1
	global_load_dword v7, v4, s[22:23]
	global_load_dword v8, v4, s[26:27]
	s_add_i32 s33, s33, -1
	s_waitcnt vmcnt(1)
	v_div_scale_f32 v9, s[2:3], v5, v5, v7
	v_div_scale_f32 v10, vcc, v7, v5, v7
	s_waitcnt vmcnt(0)
	v_sub_f32_e32 v8, v8, v1
	v_rcp_f32_e32 v11, v9
	v_fma_f32 v12, -v9, v11, 1.0
	v_fmac_f32_e32 v11, v12, v11
	v_mul_f32_e32 v12, v10, v11
	v_fma_f32 v13, -v9, v12, v10
	v_fmac_f32_e32 v12, v13, v11
	v_fma_f32 v9, -v9, v12, v10
	v_div_fmas_f32 v9, v9, v11, v12
	v_div_fixup_f32 v5, v9, v5, v7
	v_sub_f32_e32 v5, v8, v5
	v_cmp_le_f32_e32 vcc, v5, v6
	v_cmp_gt_f32_e64 s[28:29], v5, -v6
	v_addc_co_u32_e64 v3, s[2:3], 0, v3, vcc
	s_and_b64 s[2:3], vcc, s[28:29]
	s_add_u32 s26, s26, 4
	s_addc_u32 s27, s27, 0
	s_add_u32 s22, s22, 4
	s_addc_u32 s23, s23, 0
	s_cmp_lg_u32 s33, 0
	v_cndmask_b32_e64 v5, v5, -v6, s[2:3]
	s_cbranch_scc1 .LBB4_92
.LBB4_93:
	s_ashr_i32 s11, s10, 31
	s_lshl_b64 s[2:3], s[10:11], 2
	s_add_u32 s22, s6, s2
	s_addc_u32 s23, s7, s3
	v_mov_b32_e32 v4, 0
	s_add_u32 s2, s18, s2
	s_addc_u32 s3, s19, s3
	global_store_dwordx2 v4, v[0:1], s[22:23] offset:-8
	global_store_dwordx2 v4, v[2:3], s[2:3] offset:-8
.LBB4_94:
	s_or_b64 exec, exec, s[4:5]
	s_mov_b64 s[4:5], 0
	s_waitcnt vmcnt(0)
	s_barrier
                                        ; implicit-def: $vgpr2
                                        ; implicit-def: $vgpr1
	s_and_saveexec_b64 s[22:23], s[0:1]
	s_cbranch_execz .LBB4_118
; %bb.95:
	s_cmp_gt_i32 s25, 0
	s_cselect_b64 s[4:5], -1, 0
	s_cmp_lt_i32 s25, 1
	s_mov_b32 s26, 1
	s_cbranch_scc1 .LBB4_103
; %bb.96:
	s_cmp_lg_u64 s[8:9], 0
	s_cselect_b64 s[2:3], -1, 0
	s_add_u32 s11, s14, s16
	s_addc_u32 s15, s15, s17
	s_add_u32 s14, s11, 4
	v_cndmask_b32_e64 v1, 0, 1, s[2:3]
	s_addc_u32 s15, s15, 0
	v_mov_b32_e32 v0, 0
	v_cmp_ne_u32_e64 s[2:3], 1, v1
	s_branch .LBB4_98
.LBB4_97:                               ;   in Loop: Header=BB4_98 Depth=1
	s_add_i32 s26, s26, 1
	s_add_u32 s14, s14, 4
	s_addc_u32 s15, s15, 0
	s_cmp_lg_u32 s26, s10
	s_cbranch_scc0 .LBB4_103
.LBB4_98:                               ; =>This Loop Header: Depth=1
                                        ;     Child Loop BB4_99 Depth 2
	s_ashr_i32 s27, s26, 31
	s_add_i32 s11, s26, -1
	s_lshl_b64 s[28:29], s[26:27], 2
	s_add_u32 s30, s6, s28
	s_addc_u32 s31, s7, s29
	global_load_dword v1, v0, s[30:31] offset:-4
	s_mov_b64 s[42:43], s[14:15]
	s_mov_b32 s27, s26
	s_mov_b32 s40, s11
	s_waitcnt vmcnt(0)
	v_mov_b32_e32 v2, v1
.LBB4_99:                               ;   Parent Loop BB4_98 Depth=1
                                        ; =>  This Inner Loop Header: Depth=2
	global_load_dword v3, v0, s[42:43]
	s_waitcnt vmcnt(0)
	v_cmp_lt_f32_e32 vcc, v3, v2
	s_and_b64 s[44:45], vcc, exec
	s_cselect_b32 s40, s27, s40
	s_add_i32 s27, s27, 1
	s_add_u32 s42, s42, 4
	s_addc_u32 s43, s43, 0
	v_cndmask_b32_e32 v2, v2, v3, vcc
	s_cmp_eq_u32 s10, s27
	s_cbranch_scc0 .LBB4_99
; %bb.100:                              ;   in Loop: Header=BB4_98 Depth=1
	s_cmp_lg_u32 s40, s11
	s_cbranch_scc0 .LBB4_97
; %bb.101:                              ;   in Loop: Header=BB4_98 Depth=1
	s_ashr_i32 s41, s40, 31
	s_lshl_b64 s[40:41], s[40:41], 2
	s_add_u32 s42, s6, s40
	s_addc_u32 s43, s7, s41
	s_and_b64 vcc, exec, s[2:3]
	global_store_dword v0, v1, s[42:43]
	global_store_dword v0, v2, s[30:31] offset:-4
	s_cbranch_vccnz .LBB4_97
; %bb.102:                              ;   in Loop: Header=BB4_98 Depth=1
	s_add_u32 s28, s18, s28
	s_addc_u32 s29, s19, s29
	s_add_u32 s30, s18, s40
	s_addc_u32 s31, s19, s41
	global_load_dword v1, v0, s[28:29] offset:-4
	global_load_dword v2, v0, s[30:31]
	s_waitcnt vmcnt(1)
	global_store_dword v0, v1, s[30:31]
	s_waitcnt vmcnt(1)
	global_store_dword v0, v2, s[28:29] offset:-4
	s_branch .LBB4_97
.LBB4_103:
	s_ashr_i32 s11, s10, 31
	s_lshl_b64 s[2:3], s[10:11], 2
	v_mov_b32_e32 v0, 0
	s_add_u32 s14, s6, s2
	s_addc_u32 s15, s7, s3
	global_load_dword v1, v0, s[6:7]
	global_load_dword v2, v0, s[14:15] offset:-4
	v_cvt_f32_i32_e32 v3, s25
	v_cndmask_b32_e64 v4, 0, 1, s[4:5]
	s_andn2_b64 vcc, exec, s[4:5]
	v_cmp_ne_u32_e64 s[2:3], 1, v4
	s_waitcnt vmcnt(0)
	v_cmp_lt_f32_e64 s[4:5], |v1|, |v2|
	v_cndmask_b32_e64 v4, v1, v2, s[4:5]
	v_mul_f32_e64 v4, s38, |v4|
	v_fma_f32 v1, -v4, v3, v1
	v_fmac_f32_e32 v2, v4, v3
	v_sub_f32_e32 v1, v1, v6
	v_add_f32_e32 v2, v6, v2
	global_store_dword v0, v1, s[6:7]
	global_store_dword v0, v2, s[14:15] offset:-4
	s_cbranch_vccnz .LBB4_109
; %bb.104:
	s_max_i32 s11, s10, 2
	s_add_i32 s11, s11, -1
	s_add_u32 s4, s8, s16
	s_addc_u32 s5, s9, s17
	s_add_u32 s4, s4, 4
	s_addc_u32 s5, s5, 0
	s_mov_b32 s15, 0
	s_branch .LBB4_106
.LBB4_105:                              ;   in Loop: Header=BB4_106 Depth=1
	s_add_i32 s15, s15, 1
	s_add_u32 s4, s4, 4
	s_addc_u32 s5, s5, 0
	s_cmp_eq_u32 s11, s15
	s_cselect_b64 s[18:19], -1, 0
	s_mov_b32 s14, s11
	s_andn2_b64 vcc, exec, s[18:19]
	s_cbranch_vccz .LBB4_108
.LBB4_106:                              ; =>This Inner Loop Header: Depth=1
	global_load_dword v1, v0, s[4:5]
	s_mov_b64 s[18:19], -1
	s_waitcnt vmcnt(0)
	v_cmp_le_i32_e32 vcc, s36, v1
	s_cbranch_vccz .LBB4_105
; %bb.107:                              ;   in Loop: Header=BB4_106 Depth=1
                                        ; implicit-def: $sgpr4_sgpr5
	s_mov_b32 s14, s15
	s_andn2_b64 vcc, exec, s[18:19]
	s_cbranch_vccnz .LBB4_106
.LBB4_108:
	s_mov_b32 s15, 0
	s_branch .LBB4_110
.LBB4_109:
	s_mov_b64 s[14:15], 0
.LBB4_110:
	s_lshl_b64 s[4:5], s[14:15], 2
	s_add_u32 s4, s6, s4
	s_addc_u32 s5, s7, s5
	v_mov_b32_e32 v0, 0
	global_load_dword v1, v0, s[4:5]
	s_and_b64 vcc, exec, s[2:3]
	s_mov_b32 s11, 1
	s_cbranch_vccnz .LBB4_116
; %bb.111:
	s_max_i32 s10, s10, 2
	s_add_i32 s14, s10, -1
	s_add_u32 s2, s8, s16
	s_addc_u32 s3, s9, s17
	s_add_u32 s2, s2, 4
	s_addc_u32 s3, s3, 0
	s_branch .LBB4_113
.LBB4_112:                              ;   in Loop: Header=BB4_113 Depth=1
	s_mov_b32 s8, s11
                                        ; implicit-def: $sgpr2_sgpr3
	s_andn2_b64 vcc, exec, s[4:5]
	s_cbranch_vccz .LBB4_115
.LBB4_113:                              ; =>This Inner Loop Header: Depth=1
	global_load_dword v2, v0, s[2:3]
	s_mov_b64 s[4:5], -1
	s_waitcnt vmcnt(0)
	v_cmp_gt_i32_e32 vcc, s37, v2
	s_cbranch_vccz .LBB4_112
; %bb.114:                              ;   in Loop: Header=BB4_113 Depth=1
	s_add_i32 s11, s11, 1
	s_add_u32 s2, s2, 4
	s_addc_u32 s3, s3, 0
	s_cmp_eq_u32 s10, s11
	s_cselect_b64 s[4:5], -1, 0
	s_mov_b32 s8, s14
	s_andn2_b64 vcc, exec, s[4:5]
	s_cbranch_vccnz .LBB4_113
.LBB4_115:
	s_ashr_i32 s9, s8, 31
	s_branch .LBB4_117
.LBB4_116:
	s_mov_b64 s[8:9], 0
.LBB4_117:
	s_lshl_b64 s[2:3], s[8:9], 2
	s_add_u32 s2, s6, s2
	s_addc_u32 s3, s7, s3
	v_mov_b32_e32 v0, 0
	global_load_dword v2, v0, s[2:3]
	s_mov_b64 s[4:5], exec
.LBB4_118:
	s_or_b64 exec, exec, s[22:23]
.LBB4_119:
	s_and_saveexec_b64 s[2:3], s[4:5]
	s_cbranch_execz .LBB4_122
; %bb.120:
	s_and_b64 exec, exec, s[0:1]
	s_cbranch_execz .LBB4_122
; %bb.121:
	s_lshl_b64 s[0:1], s[34:35], 2
	s_add_u32 s0, s20, s0
	s_addc_u32 s1, s21, s1
	s_lshl_b32 s2, s34, 1
	s_ashr_i32 s3, s2, 31
	s_lshl_b64 s[2:3], s[2:3], 2
	s_add_u32 s2, s12, s2
	s_addc_u32 s3, s13, s3
	s_cmpk_eq_i32 s24, 0xe7
	v_mov_b32_e32 v0, 0
	s_cselect_b64 s[4:5], -1, 0
	s_waitcnt vmcnt(0)
	v_cndmask_b32_e64 v2, v2, 0, s[4:5]
	v_cndmask_b32_e64 v1, v1, 0, s[4:5]
	global_store_dword v0, v6, s[0:1]
	global_store_dwordx2 v0, v[1:2], s[2:3]
.LBB4_122:
	s_endpgm
	.section	.rodata,"a",@progbits
	.p2align	6, 0x0
	.amdhsa_kernel _ZN9rocsolver6v33100L22stebz_splitting_kernelIfPfEEv15rocblas_erange_iT_S4_iiT0_iiS5_iiPiPS4_lS6_lS6_S7_S7_S7_S7_S6_S4_S4_
		.amdhsa_group_segment_fixed_size 2048
		.amdhsa_private_segment_fixed_size 0
		.amdhsa_kernarg_size 152
		.amdhsa_user_sgpr_count 6
		.amdhsa_user_sgpr_private_segment_buffer 1
		.amdhsa_user_sgpr_dispatch_ptr 0
		.amdhsa_user_sgpr_queue_ptr 0
		.amdhsa_user_sgpr_kernarg_segment_ptr 1
		.amdhsa_user_sgpr_dispatch_id 0
		.amdhsa_user_sgpr_flat_scratch_init 0
		.amdhsa_user_sgpr_private_segment_size 0
		.amdhsa_uses_dynamic_stack 0
		.amdhsa_system_sgpr_private_segment_wavefront_offset 0
		.amdhsa_system_sgpr_workgroup_id_x 1
		.amdhsa_system_sgpr_workgroup_id_y 1
		.amdhsa_system_sgpr_workgroup_id_z 0
		.amdhsa_system_sgpr_workgroup_info 0
		.amdhsa_system_vgpr_workitem_id 0
		.amdhsa_next_free_vgpr 21
		.amdhsa_next_free_sgpr 56
		.amdhsa_reserve_vcc 1
		.amdhsa_reserve_flat_scratch 0
		.amdhsa_float_round_mode_32 0
		.amdhsa_float_round_mode_16_64 0
		.amdhsa_float_denorm_mode_32 3
		.amdhsa_float_denorm_mode_16_64 3
		.amdhsa_dx10_clamp 1
		.amdhsa_ieee_mode 1
		.amdhsa_fp16_overflow 0
		.amdhsa_exception_fp_ieee_invalid_op 0
		.amdhsa_exception_fp_denorm_src 0
		.amdhsa_exception_fp_ieee_div_zero 0
		.amdhsa_exception_fp_ieee_overflow 0
		.amdhsa_exception_fp_ieee_underflow 0
		.amdhsa_exception_fp_ieee_inexact 0
		.amdhsa_exception_int_div_zero 0
	.end_amdhsa_kernel
	.section	.text._ZN9rocsolver6v33100L22stebz_splitting_kernelIfPfEEv15rocblas_erange_iT_S4_iiT0_iiS5_iiPiPS4_lS6_lS6_S7_S7_S7_S7_S6_S4_S4_,"axG",@progbits,_ZN9rocsolver6v33100L22stebz_splitting_kernelIfPfEEv15rocblas_erange_iT_S4_iiT0_iiS5_iiPiPS4_lS6_lS6_S7_S7_S7_S7_S6_S4_S4_,comdat
.Lfunc_end4:
	.size	_ZN9rocsolver6v33100L22stebz_splitting_kernelIfPfEEv15rocblas_erange_iT_S4_iiT0_iiS5_iiPiPS4_lS6_lS6_S7_S7_S7_S7_S6_S4_S4_, .Lfunc_end4-_ZN9rocsolver6v33100L22stebz_splitting_kernelIfPfEEv15rocblas_erange_iT_S4_iiT0_iiS5_iiPiPS4_lS6_lS6_S7_S7_S7_S7_S6_S4_S4_
                                        ; -- End function
	.set _ZN9rocsolver6v33100L22stebz_splitting_kernelIfPfEEv15rocblas_erange_iT_S4_iiT0_iiS5_iiPiPS4_lS6_lS6_S7_S7_S7_S7_S6_S4_S4_.num_vgpr, 21
	.set _ZN9rocsolver6v33100L22stebz_splitting_kernelIfPfEEv15rocblas_erange_iT_S4_iiT0_iiS5_iiPiPS4_lS6_lS6_S7_S7_S7_S7_S6_S4_S4_.num_agpr, 0
	.set _ZN9rocsolver6v33100L22stebz_splitting_kernelIfPfEEv15rocblas_erange_iT_S4_iiT0_iiS5_iiPiPS4_lS6_lS6_S7_S7_S7_S7_S6_S4_S4_.numbered_sgpr, 56
	.set _ZN9rocsolver6v33100L22stebz_splitting_kernelIfPfEEv15rocblas_erange_iT_S4_iiT0_iiS5_iiPiPS4_lS6_lS6_S7_S7_S7_S7_S6_S4_S4_.num_named_barrier, 0
	.set _ZN9rocsolver6v33100L22stebz_splitting_kernelIfPfEEv15rocblas_erange_iT_S4_iiT0_iiS5_iiPiPS4_lS6_lS6_S7_S7_S7_S7_S6_S4_S4_.private_seg_size, 0
	.set _ZN9rocsolver6v33100L22stebz_splitting_kernelIfPfEEv15rocblas_erange_iT_S4_iiT0_iiS5_iiPiPS4_lS6_lS6_S7_S7_S7_S7_S6_S4_S4_.uses_vcc, 1
	.set _ZN9rocsolver6v33100L22stebz_splitting_kernelIfPfEEv15rocblas_erange_iT_S4_iiT0_iiS5_iiPiPS4_lS6_lS6_S7_S7_S7_S7_S6_S4_S4_.uses_flat_scratch, 0
	.set _ZN9rocsolver6v33100L22stebz_splitting_kernelIfPfEEv15rocblas_erange_iT_S4_iiT0_iiS5_iiPiPS4_lS6_lS6_S7_S7_S7_S7_S6_S4_S4_.has_dyn_sized_stack, 0
	.set _ZN9rocsolver6v33100L22stebz_splitting_kernelIfPfEEv15rocblas_erange_iT_S4_iiT0_iiS5_iiPiPS4_lS6_lS6_S7_S7_S7_S7_S6_S4_S4_.has_recursion, 0
	.set _ZN9rocsolver6v33100L22stebz_splitting_kernelIfPfEEv15rocblas_erange_iT_S4_iiT0_iiS5_iiPiPS4_lS6_lS6_S7_S7_S7_S7_S6_S4_S4_.has_indirect_call, 0
	.section	.AMDGPU.csdata,"",@progbits
; Kernel info:
; codeLenInByte = 5408
; TotalNumSgprs: 60
; NumVgprs: 21
; ScratchSize: 0
; MemoryBound: 0
; FloatMode: 240
; IeeeMode: 1
; LDSByteSize: 2048 bytes/workgroup (compile time only)
; SGPRBlocks: 7
; VGPRBlocks: 5
; NumSGPRsForWavesPerEU: 60
; NumVGPRsForWavesPerEU: 21
; Occupancy: 10
; WaveLimiterHint : 1
; COMPUTE_PGM_RSRC2:SCRATCH_EN: 0
; COMPUTE_PGM_RSRC2:USER_SGPR: 6
; COMPUTE_PGM_RSRC2:TRAP_HANDLER: 0
; COMPUTE_PGM_RSRC2:TGID_X_EN: 1
; COMPUTE_PGM_RSRC2:TGID_Y_EN: 1
; COMPUTE_PGM_RSRC2:TGID_Z_EN: 0
; COMPUTE_PGM_RSRC2:TIDIG_COMP_CNT: 0
	.section	.text._ZN9rocsolver6v33100L22stebz_bisection_kernelIfPfEEv15rocblas_erange_iT_T0_iiS5_iiPiPS4_lS6_lS6_lS6_S6_S7_S7_S7_S7_S6_S4_S4_,"axG",@progbits,_ZN9rocsolver6v33100L22stebz_bisection_kernelIfPfEEv15rocblas_erange_iT_T0_iiS5_iiPiPS4_lS6_lS6_lS6_S6_S7_S7_S7_S7_S6_S4_S4_,comdat
	.globl	_ZN9rocsolver6v33100L22stebz_bisection_kernelIfPfEEv15rocblas_erange_iT_T0_iiS5_iiPiPS4_lS6_lS6_lS6_S6_S7_S7_S7_S7_S6_S4_S4_ ; -- Begin function _ZN9rocsolver6v33100L22stebz_bisection_kernelIfPfEEv15rocblas_erange_iT_T0_iiS5_iiPiPS4_lS6_lS6_lS6_S6_S7_S7_S7_S7_S6_S4_S4_
	.p2align	8
	.type	_ZN9rocsolver6v33100L22stebz_bisection_kernelIfPfEEv15rocblas_erange_iT_T0_iiS5_iiPiPS4_lS6_lS6_lS6_S6_S7_S7_S7_S7_S6_S4_S4_,@function
_ZN9rocsolver6v33100L22stebz_bisection_kernelIfPfEEv15rocblas_erange_iT_T0_iiS5_iiPiPS4_lS6_lS6_lS6_S6_S7_S7_S7_S7_S6_S4_S4_: ; @_ZN9rocsolver6v33100L22stebz_bisection_kernelIfPfEEv15rocblas_erange_iT_T0_iiS5_iiPiPS4_lS6_lS6_lS6_S6_S7_S7_S7_S7_S6_S4_S4_
; %bb.0:
	s_load_dwordx16 s[8:23], s[4:5], 0x30
	s_mov_b32 s48, s7
	s_ashr_i32 s49, s7, 31
	s_lshl_b64 s[50:51], s[48:49], 2
	s_waitcnt lgkmcnt(0)
	s_add_u32 s0, s8, s50
	s_addc_u32 s1, s9, s51
	s_load_dword s33, s[0:1], 0x0
	s_waitcnt lgkmcnt(0)
	s_cmp_ge_i32 s6, s33
	s_cbranch_scc1 .LBB5_85
; %bb.1:
	s_load_dwordx8 s[24:31], s[4:5], 0x0
	s_load_dwordx4 s[44:47], s[4:5], 0x20
	s_load_dwordx8 s[36:43], s[4:5], 0x70
	s_load_dwordx4 s[0:3], s[4:5], 0x90
	s_waitcnt lgkmcnt(0)
	s_load_dword s27, s[4:5], 0xa0
	s_mul_hi_i32 s9, s31, s48
	s_mul_i32 s8, s31, s48
                                        ; kill: killed $sgpr4_sgpr5
	s_ashr_i32 s5, s30, 31
	s_lshl_b64 s[8:9], s[8:9], 2
	s_mov_b32 s4, s30
	s_add_u32 s7, s28, s8
	s_addc_u32 s34, s29, s9
	s_lshl_b64 s[30:31], s[4:5], 2
	s_add_u32 s52, s7, s30
	s_addc_u32 s53, s34, s31
	s_mul_hi_i32 s35, s47, s48
	s_mul_i32 s34, s47, s48
	s_ashr_i32 s5, s46, 31
	s_lshl_b64 s[34:35], s[34:35], 2
	s_mov_b32 s4, s46
	s_add_u32 s7, s44, s34
	s_addc_u32 s55, s45, s35
	s_lshl_b64 s[46:47], s[4:5], 2
	s_add_u32 s54, s7, s46
	s_mul_i32 s4, s12, s49
	s_mul_hi_u32 s5, s12, s48
	s_addc_u32 s55, s55, s47
	s_add_i32 s4, s5, s4
	s_mul_i32 s5, s13, s48
	s_add_i32 s5, s4, s5
	s_mul_i32 s4, s12, s48
	s_lshl_b64 s[4:5], s[4:5], 2
	s_add_u32 s56, s10, s4
	s_addc_u32 s57, s11, s5
	s_mul_i32 s4, s16, s49
	s_mul_hi_u32 s5, s16, s48
	s_add_i32 s4, s5, s4
	s_mul_i32 s5, s17, s48
	s_add_i32 s5, s4, s5
	s_mul_i32 s4, s16, s48
	s_lshl_b64 s[4:5], s[4:5], 2
	s_add_u32 s58, s14, s4
	s_addc_u32 s59, s15, s5
	s_mul_i32 s4, s20, s49
	s_mul_hi_u32 s5, s20, s48
	s_add_i32 s4, s5, s4
	s_mul_i32 s5, s21, s48
	s_add_i32 s5, s4, s5
	s_mul_i32 s4, s20, s48
	s_lshl_b64 s[4:5], s[4:5], 2
	s_add_u32 s49, s18, s4
	s_addc_u32 s60, s19, s5
	s_add_i32 s4, s25, -1
	s_mul_i32 s4, s4, s48
	s_ashr_i32 s5, s4, 31
	s_lshl_b64 s[4:5], s[4:5], 2
	s_add_u32 s61, s40, s4
	s_addc_u32 s62, s41, s5
	s_lshl_b32 s4, s48, 1
	s_ashr_i32 s5, s4, 31
	s_lshl_b64 s[4:5], s[4:5], 2
	s_add_u32 s12, s42, s4
	s_addc_u32 s13, s43, s5
	s_add_u32 s4, s38, s50
	s_addc_u32 s5, s39, s51
	s_load_dword s63, s[4:5], 0x0
	s_add_u32 s14, s22, s50
	s_mul_i32 s4, s25, s48
	s_addc_u32 s15, s23, s51
	s_lshl_b32 s10, s4, 2
	s_ashr_i32 s11, s10, 31
	s_lshl_b64 s[10:11], s[10:11], 2
	s_add_u32 s48, s0, s10
	s_addc_u32 s50, s1, s11
	s_add_u32 s51, s2, s10
	s_addc_u32 s64, s3, s11
	s_ashr_i32 s5, s4, 31
	s_lshl_b64 s[0:1], s[4:5], 2
	s_add_u32 s65, s36, s0
	s_addc_u32 s66, s37, s1
	v_mov_b32_e32 v1, 0x800000
	s_cmpk_lg_i32 s24, 0xe7
	s_waitcnt lgkmcnt(0)
	v_cmp_lt_f32_e32 vcc, s63, v1
	s_cselect_b64 s[16:17], -1, 0
	s_and_b64 s[4:5], vcc, exec
	s_cselect_b32 s4, 32, 0
	v_mov_b32_e32 v2, s4
	v_ldexp_f32 v2, s63, v2
	s_add_u32 s7, s8, s30
	v_log_f32_e32 v2, v2
	s_addc_u32 s8, s9, s31
	s_add_u32 s7, s28, s7
	s_addc_u32 s8, s29, s8
	s_add_u32 s69, s7, 4
	s_mov_b32 s67, 0x3f317217
	v_mul_f32_e32 v3, 0x3f317217, v2
	s_addc_u32 s70, s8, 0
	v_fma_f32 v3, v2, s67, -v3
	s_add_u32 s7, s34, s46
	v_mov_b32_e32 v9, 0x41b17218
	v_fmac_f32_e32 v3, 0x3377d1cf, v2
	s_mov_b32 s68, 0x7f800000
	s_addc_u32 s8, s35, s47
	v_cndmask_b32_e32 v1, 0, v9, vcc
	v_fmac_f32_e32 v3, 0x3f317217, v2
	v_cmp_lt_f32_e64 vcc, |v2|, s68
	s_add_u32 s7, s44, s7
	v_cndmask_b32_e32 v2, v2, v3, vcc
	s_addc_u32 s8, s45, s8
	v_sub_f32_e32 v10, v2, v1
	v_mov_b32_e32 v1, 0x1000
	v_lshlrev_b32_e32 v12, 4, v0
	s_add_u32 s44, s7, 4
	s_mov_b32 s18, 0xfefa39ef
	v_cmp_lt_f32_e64 s[0:1], s26, 0
	v_cmp_eq_u32_e64 s[2:3], 0, v0
	v_cmp_ne_u32_e64 s[4:5], 0, v0
	s_mov_b32 s24, 0x800000
	v_lshl_or_b32 v11, v0, 2, v1
	v_or_b32_e32 v13, 0x800, v12
	v_add_f32_e64 v14, s27, s27
	s_addc_u32 s45, s8, 0
	v_mov_b32_e32 v15, 0
	s_mov_b32 s19, 0x3fe62e42
	v_mov_b32_e32 v16, s63
	v_mov_b32_e32 v17, 1
                                        ; implicit-def: $sgpr46
                                        ; implicit-def: $sgpr47
                                        ; implicit-def: $sgpr71
                                        ; implicit-def: $sgpr72
                                        ; implicit-def: $vgpr18
	s_branch .LBB5_4
.LBB5_2:                                ;   in Loop: Header=BB5_4 Depth=1
	s_or_b64 exec, exec, s[8:9]
	v_mov_b32_e32 v4, v18
	s_mov_b32 s73, s72
	s_mov_b32 s7, s71
	;; [unrolled: 1-line block ×4, first 2 shown]
.LBB5_3:                                ;   in Loop: Header=BB5_4 Depth=1
	s_add_i32 s6, s6, 64
	s_cmp_lt_i32 s6, s33
	s_mov_b32 s46, s23
	s_mov_b32 s47, s74
	;; [unrolled: 1-line block ×4, first 2 shown]
	v_mov_b32_e32 v18, v4
	s_waitcnt vmcnt(0)
	s_barrier
	s_cbranch_scc0 .LBB5_85
.LBB5_4:                                ; =>This Loop Header: Depth=1
                                        ;     Child Loop BB5_9 Depth 2
                                        ;     Child Loop BB5_20 Depth 2
	;; [unrolled: 1-line block ×4, first 2 shown]
                                        ;       Child Loop BB5_37 Depth 3
                                        ;         Child Loop BB5_40 Depth 4
                                        ;         Child Loop BB5_53 Depth 4
                                        ;     Child Loop BB5_69 Depth 2
                                        ;       Child Loop BB5_71 Depth 3
	s_ashr_i32 s7, s6, 31
	s_cmp_eq_u32 s6, 0
	s_mov_b32 s22, 0
	s_cbranch_scc1 .LBB5_6
; %bb.5:                                ;   in Loop: Header=BB5_4 Depth=1
	s_lshl_b64 s[8:9], s[6:7], 2
	s_add_u32 s8, s49, s8
	s_addc_u32 s9, s60, s9
	global_load_dword v1, v15, s[8:9] offset:-4
	s_waitcnt vmcnt(0)
	v_readfirstlane_b32 s22, v1
.LBB5_6:                                ;   in Loop: Header=BB5_4 Depth=1
	s_lshl_b64 s[20:21], s[6:7], 2
	s_add_u32 s8, s49, s20
	s_addc_u32 s9, s60, s21
	global_load_dword v1, v15, s[8:9]
	s_waitcnt vmcnt(0)
	v_readfirstlane_b32 s74, v1
	s_sub_i32 s10, s74, s22
	s_cmp_lg_u32 s10, 1
	s_cbranch_scc0 .LBB5_63
; %bb.7:                                ;   in Loop: Header=BB5_4 Depth=1
	s_ashr_i32 s23, s22, 31
	s_lshl_b64 s[30:31], s[22:23], 2
	s_add_u32 s28, s52, s30
	s_addc_u32 s29, s53, s31
	s_add_u32 s8, s54, s30
	s_addc_u32 s9, s55, s31
	global_load_dword v1, v15, s[8:9]
	global_load_dword v6, v15, s[28:29]
	s_cmp_lt_i32 s10, 3
	s_waitcnt vmcnt(1)
	v_and_b32_e32 v3, 0x7fffffff, v1
	s_waitcnt vmcnt(0)
	v_sub_f32_e64 v2, v6, |v1|
	v_add_f32_e64 v1, v6, |v1|
	s_cbranch_scc1 .LBB5_10
; %bb.8:                                ;   in Loop: Header=BB5_4 Depth=1
	s_add_i32 s7, s10, -2
	s_add_u32 s8, s69, s30
	s_addc_u32 s9, s70, s31
	s_add_u32 s34, s44, s30
	s_addc_u32 s35, s45, s31
.LBB5_9:                                ;   Parent Loop BB5_4 Depth=1
                                        ; =>  This Inner Loop Header: Depth=2
	global_load_dword v4, v15, s[8:9]
	global_load_dword v5, v15, s[34:35]
	v_mov_b32_e32 v7, v3
	s_add_i32 s7, s7, -1
	s_add_u32 s8, s8, 4
	s_addc_u32 s9, s9, 0
	s_add_u32 s34, s34, 4
	s_addc_u32 s35, s35, 0
	s_cmp_lg_u32 s7, 0
	s_waitcnt vmcnt(1)
	v_sub_f32_e32 v8, v4, v7
	v_add_f32_e32 v4, v7, v4
	s_waitcnt vmcnt(0)
	v_sub_f32_e64 v7, v8, |v5|
	v_add_f32_e64 v4, v4, |v5|
	v_cmp_lt_f32_e32 vcc, v7, v2
	v_cndmask_b32_e32 v2, v2, v7, vcc
	v_cmp_lt_f32_e32 vcc, v1, v4
	v_and_b32_e32 v3, 0x7fffffff, v5
	v_cndmask_b32_e32 v1, v1, v4, vcc
	s_cbranch_scc1 .LBB5_9
.LBB5_10:                               ;   in Loop: Header=BB5_4 Depth=1
	s_ashr_i32 s11, s10, 31
	s_lshl_b64 s[8:9], s[10:11], 2
	s_add_u32 s8, s28, s8
	s_addc_u32 s9, s29, s9
	global_load_dword v4, v15, s[8:9] offset:-4
	v_cvt_f32_i32_e32 v7, s10
	s_andn2_b64 vcc, exec, s[16:17]
	s_waitcnt vmcnt(0)
	v_sub_f32_e32 v5, v4, v3
	v_add_f32_e32 v3, v3, v4
	v_cmp_lt_f32_e64 s[8:9], v5, v2
	v_cndmask_b32_e64 v2, v2, v5, s[8:9]
	v_cmp_lt_f32_e64 s[8:9], v1, v3
	v_cndmask_b32_e64 v3, v1, v3, s[8:9]
	v_cmp_lt_f32_e64 s[8:9], |v2|, |v3|
	v_cndmask_b32_e64 v1, v2, v3, s[8:9]
	v_mul_f32_e64 v5, s27, |v1|
	v_fma_f32 v1, -v5, v7, v2
	v_fmac_f32_e32 v3, v5, v7
	v_subrev_f32_e32 v1, s63, v1
	v_add_f32_e32 v2, s63, v3
	s_cbranch_vccnz .LBB5_12
; %bb.11:                               ;   in Loop: Header=BB5_4 Depth=1
	global_load_dwordx2 v[3:4], v15, s[12:13]
	s_waitcnt vmcnt(0)
	v_cmp_lt_f32_e32 vcc, v1, v3
	v_cndmask_b32_e32 v1, v1, v3, vcc
	v_cmp_lt_f32_e32 vcc, v4, v2
	v_cndmask_b32_e32 v2, v2, v4, vcc
.LBB5_12:                               ;   in Loop: Header=BB5_4 Depth=1
	v_cmp_nlt_f32_e32 vcc, v1, v2
	s_mov_b64 s[8:9], -1
	s_cbranch_vccz .LBB5_16
; %bb.13:                               ;   in Loop: Header=BB5_4 Depth=1
	s_and_saveexec_b64 s[8:9], s[2:3]
	s_cbranch_execz .LBB5_15
; %bb.14:                               ;   in Loop: Header=BB5_4 Depth=1
	s_add_u32 s34, s65, s20
	s_addc_u32 s35, s66, s21
	ds_write_b16 v15, v15 offset:4612
	global_store_dword v15, v15, s[34:35]
.LBB5_15:                               ;   in Loop: Header=BB5_4 Depth=1
	s_or_b64 exec, exec, s[8:9]
	s_mov_b64 s[8:9], 0
.LBB5_16:                               ;   in Loop: Header=BB5_4 Depth=1
	s_andn2_b64 vcc, exec, s[8:9]
	v_mov_b32_e32 v4, v18
	s_mov_b32 s73, s72
	s_mov_b32 s7, s71
	;; [unrolled: 1-line block ×3, first 2 shown]
	s_cbranch_vccnz .LBB5_29
; %bb.17:                               ;   in Loop: Header=BB5_4 Depth=1
	v_sub_f32_e32 v3, v2, v1
	v_add_f32_e32 v3, s63, v3
	v_cmp_gt_f32_e32 vcc, s24, v3
	s_and_b64 s[8:9], vcc, exec
	s_cselect_b32 s7, 32, 0
	v_ldexp_f32 v3, v3, s7
	v_log_f32_e32 v3, v3
	v_cndmask_b32_e32 v4, 0, v9, vcc
	v_mul_f32_e32 v7, 0x3f317217, v3
	v_fma_f32 v7, v3, s67, -v7
	v_fmac_f32_e32 v7, 0x3377d1cf, v3
	v_fmac_f32_e32 v7, 0x3f317217, v3
	v_cmp_lt_f32_e64 vcc, |v3|, s68
	v_cndmask_b32_e32 v3, v3, v7, vcc
	v_sub_f32_e32 v3, v3, v4
	v_sub_f32_e32 v3, v3, v10
	v_cvt_f64_f32_e32 v[3:4], v3
	v_div_scale_f64 v[7:8], s[8:9], s[18:19], s[18:19], v[3:4]
	v_rcp_f64_e32 v[19:20], v[7:8]
	v_fma_f64 v[21:22], -v[7:8], v[19:20], 1.0
	v_fma_f64 v[19:20], v[19:20], v[21:22], v[19:20]
	v_div_scale_f64 v[21:22], vcc, v[3:4], s[18:19], v[3:4]
	v_fma_f64 v[23:24], -v[7:8], v[19:20], 1.0
	v_fma_f64 v[19:20], v[19:20], v[23:24], v[19:20]
	v_mul_f64 v[23:24], v[21:22], v[19:20]
	v_fma_f64 v[7:8], -v[7:8], v[23:24], v[21:22]
	v_div_fmas_f64 v[7:8], v[7:8], v[19:20], v[23:24]
	v_div_fixup_f64 v[3:4], v[7:8], s[18:19], v[3:4]
	v_cvt_i32_f64_e32 v3, v[3:4]
	v_mov_b32_e32 v4, v18
	v_readfirstlane_b32 s7, v3
	s_and_saveexec_b64 s[34:35], s[2:3]
	s_cbranch_execz .LBB5_28
; %bb.18:                               ;   in Loop: Header=BB5_4 Depth=1
	s_add_u32 s36, s61, s30
	s_addc_u32 s37, s62, s31
	v_sub_f32_e32 v4, v6, v1
	s_cmp_gt_i32 s10, 1
	v_cmp_ge_f32_e32 vcc, s63, v4
	s_cselect_b64 s[38:39], -1, 0
	s_cmp_lt_i32 s10, 2
	v_cndmask_b32_e64 v3, 0, 1, vcc
	ds_write_b8 v15, v15 offset:4613
	s_cbranch_scc1 .LBB5_21
; %bb.19:                               ;   in Loop: Header=BB5_4 Depth=1
	v_cmp_gt_f32_e64 s[8:9], v4, -s63
	v_mov_b32_e32 v7, s63
	s_and_b64 s[8:9], vcc, s[8:9]
	v_cndmask_b32_e64 v4, v4, -v7, s[8:9]
	s_not_b32 s8, s22
	s_add_i32 s11, s8, s74
	s_add_u32 s40, s69, s30
	s_addc_u32 s41, s70, s31
	s_mov_b64 s[42:43], s[36:37]
.LBB5_20:                               ;   Parent Loop BB5_4 Depth=1
                                        ; =>  This Inner Loop Header: Depth=2
	global_load_dword v7, v15, s[42:43]
	global_load_dword v8, v15, s[40:41]
	s_add_i32 s11, s11, -1
	s_waitcnt vmcnt(1)
	v_div_scale_f32 v19, s[8:9], v4, v4, v7
	v_div_scale_f32 v20, vcc, v7, v4, v7
	s_waitcnt vmcnt(0)
	v_sub_f32_e32 v8, v8, v1
	v_rcp_f32_e32 v21, v19
	v_fma_f32 v22, -v19, v21, 1.0
	v_fmac_f32_e32 v21, v22, v21
	v_mul_f32_e32 v22, v20, v21
	v_fma_f32 v23, -v19, v22, v20
	v_fmac_f32_e32 v22, v23, v21
	v_fma_f32 v19, -v19, v22, v20
	v_div_fmas_f32 v19, v19, v21, v22
	v_div_fixup_f32 v4, v19, v4, v7
	v_sub_f32_e32 v4, v8, v4
	v_cmp_ge_f32_e32 vcc, s63, v4
	v_cmp_gt_f32_e64 s[76:77], v4, -s63
	v_addc_co_u32_e64 v3, s[8:9], 0, v3, vcc
	s_and_b64 s[8:9], vcc, s[76:77]
	s_add_u32 s40, s40, 4
	s_addc_u32 s41, s41, 0
	s_add_u32 s42, s42, 4
	s_addc_u32 s43, s43, 0
	s_cmp_lg_u32 s11, 0
	v_cndmask_b32_e64 v4, v4, -v16, s[8:9]
	s_cbranch_scc1 .LBB5_20
.LBB5_21:                               ;   in Loop: Header=BB5_4 Depth=1
	v_sub_f32_e32 v6, v6, v2
	v_cmp_ge_f32_e64 s[8:9], s63, v6
	s_andn2_b64 vcc, exec, s[38:39]
	v_cndmask_b32_e64 v4, 0, 1, s[8:9]
	s_cbranch_vccnz .LBB5_24
; %bb.22:                               ;   in Loop: Header=BB5_4 Depth=1
	v_cmp_gt_f32_e64 s[38:39], v6, -s63
	s_and_b64 s[8:9], s[8:9], s[38:39]
	v_cndmask_b32_e64 v6, v6, -v16, s[8:9]
	s_not_b32 s8, s22
	s_add_i32 s11, s8, s74
	s_add_u32 s38, s69, s30
	s_addc_u32 s39, s70, s31
.LBB5_23:                               ;   Parent Loop BB5_4 Depth=1
                                        ; =>  This Inner Loop Header: Depth=2
	global_load_dword v7, v15, s[36:37]
	global_load_dword v8, v15, s[38:39]
	s_add_i32 s11, s11, -1
	s_waitcnt vmcnt(1)
	v_div_scale_f32 v19, s[8:9], v6, v6, v7
	v_div_scale_f32 v20, vcc, v7, v6, v7
	s_waitcnt vmcnt(0)
	v_sub_f32_e32 v8, v8, v2
	v_rcp_f32_e32 v21, v19
	v_fma_f32 v22, -v19, v21, 1.0
	v_fmac_f32_e32 v21, v22, v21
	v_mul_f32_e32 v22, v20, v21
	v_fma_f32 v23, -v19, v22, v20
	v_fmac_f32_e32 v22, v23, v21
	v_fma_f32 v19, -v19, v22, v20
	v_div_fmas_f32 v19, v19, v21, v22
	v_div_fixup_f32 v6, v19, v6, v7
	v_sub_f32_e32 v6, v8, v6
	v_cmp_ge_f32_e32 vcc, s63, v6
	v_cmp_gt_f32_e64 s[40:41], v6, -s63
	v_addc_co_u32_e64 v4, s[8:9], 0, v4, vcc
	s_and_b64 s[8:9], vcc, s[40:41]
	s_add_u32 s38, s38, 4
	s_addc_u32 s39, s39, 0
	s_add_u32 s36, s36, 4
	s_addc_u32 s37, s37, 0
	s_cmp_lg_u32 s11, 0
	v_cndmask_b32_e64 v6, v6, -v16, s[8:9]
	s_cbranch_scc1 .LBB5_23
.LBB5_24:                               ;   in Loop: Header=BB5_4 Depth=1
	v_sub_u32_e32 v6, v4, v3
	v_cmp_gt_i32_e32 vcc, 1, v6
	s_mov_b64 s[8:9], -1
	s_cbranch_vccz .LBB5_26
; %bb.25:                               ;   in Loop: Header=BB5_4 Depth=1
	s_add_u32 s8, s65, s20
	s_addc_u32 s9, s66, s21
	ds_write_b8 v15, v15 offset:4612
	global_store_dword v15, v15, s[8:9]
	s_mov_b64 s[8:9], 0
.LBB5_26:                               ;   in Loop: Header=BB5_4 Depth=1
	s_andn2_b64 vcc, exec, s[8:9]
	s_cbranch_vccnz .LBB5_28
; %bb.27:                               ;   in Loop: Header=BB5_4 Depth=1
	s_add_i32 s8, s22, s25
	s_lshl_b32 s8, s8, 1
	s_ashr_i32 s9, s8, 31
	s_lshl_b64 s[8:9], s[8:9], 2
	s_add_u32 s36, s48, s8
	s_addc_u32 s37, s50, s9
	global_store_dwordx2 v15, v[1:2], s[36:37]
	s_add_u32 s36, s65, s20
	s_addc_u32 s37, s66, s21
	s_add_u32 s8, s51, s8
	s_addc_u32 s9, s64, s9
	ds_write_b8 v15, v17 offset:4612
	global_store_dword v15, v6, s[36:37]
	global_store_dwordx2 v15, v[3:4], s[8:9]
.LBB5_28:                               ;   in Loop: Header=BB5_4 Depth=1
	s_or_b64 exec, exec, s[34:35]
	s_add_i32 s7, s7, 2
	s_mov_b32 s23, 0
	s_mov_b32 s73, 1
.LBB5_29:                               ;   in Loop: Header=BB5_4 Depth=1
	s_waitcnt vmcnt(0) lgkmcnt(0)
	s_barrier
	ds_read_u16 v1, v15 offset:4612
	s_waitcnt lgkmcnt(0)
	v_readfirstlane_b32 s8, v1
	s_bitcmp1_b32 s8, 0
	s_cselect_b64 s[38:39], -1, 0
	s_bitcmp1_b32 s8, 8
	s_cselect_b64 s[8:9], -1, 0
	s_xor_b64 s[34:35], s[8:9], -1
	s_and_b64 s[34:35], s[38:39], s[34:35]
	s_cmp_lt_i32 s23, s7
	s_cselect_b64 s[36:37], -1, 0
	s_and_b64 s[34:35], s[34:35], s[36:37]
	s_andn2_b64 vcc, exec, s[34:35]
	s_cbranch_vccnz .LBB5_64
; %bb.30:                               ;   in Loop: Header=BB5_4 Depth=1
	s_add_i32 s8, s22, s25
	s_lshl_b32 s75, s22, 1
	s_lshl_b32 s76, s8, 1
	s_add_u32 s34, s61, s30
	s_addc_u32 s35, s62, s31
	s_cmp_gt_i32 s10, 1
	v_mov_b32_e32 v1, s26
	s_cselect_b64 s[36:37], -1, 0
	s_not_b32 s77, s22
	v_cndmask_b32_e64 v1, v1, v5, s[0:1]
	s_add_i32 s77, s77, s74
	v_mov_b32_e32 v2, s63
	v_cmp_gt_f32_e32 vcc, s63, v1
	s_add_u32 s30, s69, s30
	v_cndmask_b32_e32 v19, v1, v2, vcc
	s_addc_u32 s31, s70, s31
	s_branch .LBB5_32
.LBB5_31:                               ;   in Loop: Header=BB5_32 Depth=2
	s_or_b64 exec, exec, s[8:9]
	s_waitcnt lgkmcnt(0)
	s_barrier
	ds_read_u16 v1, v15 offset:4612
	s_add_i32 s23, s23, 1
	s_waitcnt lgkmcnt(0)
	v_readfirstlane_b32 s8, v1
	s_bitcmp1_b32 s8, 0
	s_cselect_b64 s[38:39], -1, 0
	s_bitcmp1_b32 s8, 8
	s_cselect_b64 s[8:9], -1, 0
	s_xor_b64 s[10:11], s[8:9], -1
	s_and_b64 s[10:11], s[38:39], s[10:11]
	s_cmp_lt_i32 s23, s7
	s_cselect_b64 s[40:41], -1, 0
	s_and_b64 s[10:11], s[10:11], s[40:41]
	s_and_b64 vcc, exec, s[10:11]
	s_cbranch_vccz .LBB5_65
.LBB5_32:                               ;   Parent Loop BB5_4 Depth=1
                                        ; =>  This Loop Header: Depth=2
                                        ;       Child Loop BB5_37 Depth 3
                                        ;         Child Loop BB5_40 Depth 4
                                        ;         Child Loop BB5_53 Depth 4
	s_and_saveexec_b64 s[8:9], s[2:3]
; %bb.33:                               ;   in Loop: Header=BB5_32 Depth=2
	ds_write_b32 v15, v15 offset:4608
; %bb.34:                               ;   in Loop: Header=BB5_32 Depth=2
	s_or_b64 exec, exec, s[8:9]
	s_bitcmp0_b32 s23, 0
	s_cselect_b64 s[8:9], -1, 0
	s_and_b64 s[10:11], s[8:9], exec
	s_cselect_b32 s74, s75, s76
	s_cmp_lt_i32 s73, 1
	s_cbranch_scc1 .LBB5_60
; %bb.35:                               ;   in Loop: Header=BB5_32 Depth=2
	s_and_b64 s[8:9], s[8:9], exec
	s_cselect_b32 s78, s76, s75
	s_mov_b32 s79, 0
	s_branch .LBB5_37
.LBB5_36:                               ;   in Loop: Header=BB5_37 Depth=3
	s_or_b64 exec, exec, s[8:9]
	s_addk_i32 s79, 0x80
	s_cmp_ge_i32 s79, s73
	s_waitcnt lgkmcnt(0)
	s_barrier
	s_cbranch_scc1 .LBB5_60
.LBB5_37:                               ;   Parent Loop BB5_4 Depth=1
                                        ;     Parent Loop BB5_32 Depth=2
                                        ; =>    This Loop Header: Depth=3
                                        ;         Child Loop BB5_40 Depth 4
                                        ;         Child Loop BB5_53 Depth 4
	v_add_u32_e32 v1, s79, v0
	v_cmp_gt_i32_e64 s[8:9], s73, v1
	s_and_saveexec_b64 s[38:39], s[8:9]
	s_cbranch_execz .LBB5_50
; %bb.38:                               ;   in Loop: Header=BB5_37 Depth=3
	v_lshl_add_u32 v1, v1, 1, s78
	v_ashrrev_i32_e32 v2, 31, v1
	v_lshlrev_b64 v[3:4], 2, v[1:2]
	v_mov_b32_e32 v2, s50
	v_add_co_u32_e32 v1, vcc, s48, v3
	v_addc_co_u32_e32 v2, vcc, v2, v4, vcc
	global_load_dwordx2 v[7:8], v[1:2], off
	v_mov_b32_e32 v1, s64
	global_load_dword v2, v15, s[28:29]
	v_add_co_u32_e32 v3, vcc, s51, v3
	v_addc_co_u32_e32 v4, vcc, v1, v4, vcc
	global_load_dwordx2 v[3:4], v[3:4], off
	s_andn2_b64 vcc, exec, s[36:37]
	s_waitcnt vmcnt(2)
	v_add_f32_e32 v1, v7, v8
	v_mul_f32_e32 v6, 0.5, v1
	s_waitcnt vmcnt(1)
	v_fmac_f32_e32 v2, -0.5, v1
	v_cmp_ge_f32_e64 s[10:11], s63, v2
	v_cndmask_b32_e64 v1, 0, 1, s[10:11]
	s_cbranch_vccnz .LBB5_41
; %bb.39:                               ;   in Loop: Header=BB5_37 Depth=3
	v_cmp_gt_f32_e64 s[40:41], v2, -s63
	v_mov_b32_e32 v5, s63
	s_and_b64 s[10:11], s[10:11], s[40:41]
	v_cndmask_b32_e64 v2, v2, -v5, s[10:11]
	s_mov_b64 s[40:41], s[34:35]
	s_mov_b64 s[42:43], s[30:31]
	s_mov_b32 s80, s77
.LBB5_40:                               ;   Parent Loop BB5_4 Depth=1
                                        ;     Parent Loop BB5_32 Depth=2
                                        ;       Parent Loop BB5_37 Depth=3
                                        ; =>      This Inner Loop Header: Depth=4
	global_load_dword v5, v15, s[40:41]
	global_load_dword v20, v15, s[42:43]
	s_add_i32 s80, s80, -1
	s_waitcnt vmcnt(1)
	v_div_scale_f32 v21, s[10:11], v2, v2, v5
	v_div_scale_f32 v22, vcc, v5, v2, v5
	s_waitcnt vmcnt(0)
	v_sub_f32_e32 v20, v20, v6
	v_rcp_f32_e32 v23, v21
	v_fma_f32 v24, -v21, v23, 1.0
	v_fmac_f32_e32 v23, v24, v23
	v_mul_f32_e32 v24, v22, v23
	v_fma_f32 v25, -v21, v24, v22
	v_fmac_f32_e32 v24, v25, v23
	v_fma_f32 v21, -v21, v24, v22
	v_div_fmas_f32 v21, v21, v23, v24
	v_mov_b32_e32 v22, s63
	v_div_fixup_f32 v2, v21, v2, v5
	v_sub_f32_e32 v2, v20, v2
	v_cmp_ge_f32_e32 vcc, s63, v2
	v_cmp_gt_f32_e64 s[82:83], v2, -s63
	v_addc_co_u32_e64 v1, s[10:11], 0, v1, vcc
	s_and_b64 s[10:11], vcc, s[82:83]
	s_add_u32 s42, s42, 4
	s_addc_u32 s43, s43, 0
	s_add_u32 s40, s40, 4
	s_addc_u32 s41, s41, 0
	s_cmp_lg_u32 s80, 0
	v_cndmask_b32_e64 v2, v2, -v22, s[10:11]
	s_cbranch_scc1 .LBB5_40
.LBB5_41:                               ;   in Loop: Header=BB5_37 Depth=3
	s_waitcnt vmcnt(0)
	v_max_i32_e32 v1, v1, v3
	v_min_i32_e32 v2, v1, v4
	v_cmp_ne_u32_e32 vcc, v2, v3
	s_and_saveexec_b64 s[10:11], vcc
	s_xor_b64 s[10:11], exec, s[10:11]
	s_cbranch_execz .LBB5_47
; %bb.42:                               ;   in Loop: Header=BB5_37 Depth=3
	v_cmp_le_i32_e32 vcc, v4, v1
	s_and_saveexec_b64 s[40:41], vcc
	s_xor_b64 s[40:41], exec, s[40:41]
	s_cbranch_execz .LBB5_44
; %bb.43:                               ;   in Loop: Header=BB5_37 Depth=3
	v_mov_b32_e32 v8, v6
	v_mov_b32_e32 v1, v3
	ds_write_b32 v11, v15
	ds_write_b64 v12, v[7:8]
	ds_write_b64 v13, v[1:2]
                                        ; implicit-def: $vgpr7_vgpr8
.LBB5_44:                               ;   in Loop: Header=BB5_37 Depth=3
	s_andn2_saveexec_b64 s[40:41], s[40:41]
	s_cbranch_execz .LBB5_46
; %bb.45:                               ;   in Loop: Header=BB5_37 Depth=3
	v_mov_b32_e32 v5, v7
	v_mov_b32_e32 v7, v6
	;; [unrolled: 1-line block ×4, first 2 shown]
	ds_write_b32 v11, v17
	ds_write_b128 v12, v[5:8]
	ds_write_b128 v13, v[1:4]
.LBB5_46:                               ;   in Loop: Header=BB5_37 Depth=3
	s_or_b64 exec, exec, s[40:41]
                                        ; implicit-def: $vgpr6
.LBB5_47:                               ;   in Loop: Header=BB5_37 Depth=3
	s_andn2_saveexec_b64 s[10:11], s[10:11]
	s_cbranch_execz .LBB5_49
; %bb.48:                               ;   in Loop: Header=BB5_37 Depth=3
	v_mov_b32_e32 v7, v8
	ds_write_b32 v11, v15
	ds_write_b64 v12, v[6:7]
	ds_write_b64 v13, v[3:4]
.LBB5_49:                               ;   in Loop: Header=BB5_37 Depth=3
	s_or_b64 exec, exec, s[10:11]
.LBB5_50:                               ;   in Loop: Header=BB5_37 Depth=3
	s_or_b64 exec, exec, s[38:39]
	s_waitcnt lgkmcnt(0)
	s_barrier
	s_and_saveexec_b64 s[10:11], s[8:9]
	s_cbranch_execz .LBB5_58
; %bb.51:                               ;   in Loop: Header=BB5_37 Depth=3
	v_mov_b32_e32 v4, 0
	s_and_saveexec_b64 s[8:9], s[4:5]
	s_cbranch_execz .LBB5_55
; %bb.52:                               ;   in Loop: Header=BB5_37 Depth=3
	s_movk_i32 s40, 0x1000
	s_mov_b64 s[38:39], 0
	v_mov_b32_e32 v4, 0
	v_mov_b32_e32 v1, v0
.LBB5_53:                               ;   Parent Loop BB5_4 Depth=1
                                        ;     Parent Loop BB5_32 Depth=2
                                        ;       Parent Loop BB5_37 Depth=3
                                        ; =>      This Inner Loop Header: Depth=4
	v_mov_b32_e32 v2, s40
	ds_read_b32 v2, v2
	v_add_u32_e32 v1, -1, v1
	s_add_i32 s40, s40, 4
	v_cmp_eq_u32_e32 vcc, 0, v1
	s_or_b64 s[38:39], vcc, s[38:39]
	s_waitcnt lgkmcnt(0)
	v_add_u32_e32 v4, v2, v4
	s_andn2_b64 exec, exec, s[38:39]
	s_cbranch_execnz .LBB5_53
; %bb.54:                               ;   in Loop: Header=BB5_37 Depth=3
	s_or_b64 exec, exec, s[38:39]
.LBB5_55:                               ;   in Loop: Header=BB5_37 Depth=3
	s_or_b64 exec, exec, s[8:9]
	ds_read_b32 v1, v15 offset:4608
	ds_read_b64 v[7:8], v13
	ds_read_b64 v[20:21], v12
	ds_read_b32 v22, v11
	v_mov_b32_e32 v3, s50
	s_waitcnt lgkmcnt(3)
	v_add3_u32 v1, v4, v0, v1
	v_lshl_add_u32 v1, v1, 1, s74
	v_ashrrev_i32_e32 v2, 31, v1
	v_lshlrev_b64 v[5:6], 2, v[1:2]
	v_add_co_u32_e32 v1, vcc, s48, v5
	v_addc_co_u32_e32 v2, vcc, v3, v6, vcc
	v_mov_b32_e32 v3, s64
	v_add_co_u32_e32 v5, vcc, s51, v5
	v_addc_co_u32_e32 v6, vcc, v3, v6, vcc
	s_waitcnt lgkmcnt(0)
	v_cmp_ne_u32_e32 vcc, 0, v22
	global_store_dwordx2 v[1:2], v[20:21], off
	global_store_dwordx2 v[5:6], v[7:8], off
	s_and_saveexec_b64 s[8:9], vcc
	s_cbranch_execz .LBB5_57
; %bb.56:                               ;   in Loop: Header=BB5_37 Depth=3
	ds_read_b64 v[7:8], v12 offset:8
	ds_read_b64 v[20:21], v13 offset:8
	s_waitcnt lgkmcnt(1)
	global_store_dwordx2 v[1:2], v[7:8], off offset:8
	s_waitcnt lgkmcnt(0)
	global_store_dwordx2 v[5:6], v[20:21], off offset:8
.LBB5_57:                               ;   in Loop: Header=BB5_37 Depth=3
	s_or_b64 exec, exec, s[8:9]
.LBB5_58:                               ;   in Loop: Header=BB5_37 Depth=3
	s_or_b64 exec, exec, s[10:11]
	s_sub_i32 s8, s73, s79
	s_min_i32 s10, s8, 0x80
	s_add_i32 s8, s10, -1
	v_cmp_eq_u32_e32 vcc, s8, v0
	s_waitcnt vmcnt(0)
	s_barrier
	s_and_saveexec_b64 s[8:9], vcc
	s_cbranch_execz .LBB5_36
; %bb.59:                               ;   in Loop: Header=BB5_37 Depth=3
	ds_read_b32 v1, v11
	ds_read_b32 v2, v15 offset:4608
	v_add_u32_e32 v3, s10, v4
	s_waitcnt lgkmcnt(0)
	v_add3_u32 v1, v3, v1, v2
	ds_write_b32 v15, v1 offset:4608
	s_branch .LBB5_36
.LBB5_60:                               ;   in Loop: Header=BB5_32 Depth=2
	ds_read_b32 v1, v15 offset:4608
	s_waitcnt lgkmcnt(0)
	v_readfirstlane_b32 s73, v1
	s_and_saveexec_b64 s[8:9], s[2:3]
	s_cbranch_execz .LBB5_31
; %bb.61:                               ;   in Loop: Header=BB5_32 Depth=2
	ds_read_b64 v[1:2], v15
	s_waitcnt lgkmcnt(0)
	v_cmp_lt_f32_e64 vcc, |v1|, |v2|
	v_sub_f32_e32 v3, v2, v1
	v_cndmask_b32_e32 v1, v1, v2, vcc
	v_mul_f32_e64 v1, v14, |v1|
	v_cmp_lt_f32_e32 vcc, v19, v1
	v_cndmask_b32_e32 v1, v19, v1, vcc
	v_cmp_nlt_f32_e32 vcc, v3, v1
	s_cbranch_vccnz .LBB5_31
; %bb.62:                               ;   in Loop: Header=BB5_32 Depth=2
	ds_write_b8 v15, v17 offset:4613
	s_branch .LBB5_31
.LBB5_63:                               ;   in Loop: Header=BB5_4 Depth=1
                                        ; implicit-def: $sgpr23
                                        ; implicit-def: $sgpr74
                                        ; implicit-def: $sgpr7
                                        ; implicit-def: $sgpr73
                                        ; implicit-def: $vgpr4
	s_cbranch_execz .LBB5_3
	s_branch .LBB5_77
.LBB5_64:                               ;   in Loop: Header=BB5_4 Depth=1
	s_mov_b32 s74, s47
.LBB5_65:                               ;   in Loop: Header=BB5_4 Depth=1
	s_and_b64 s[28:29], s[2:3], s[38:39]
	s_and_saveexec_b64 s[10:11], s[28:29]
	s_cbranch_execz .LBB5_76
; %bb.66:                               ;   in Loop: Header=BB5_4 Depth=1
	s_cmp_lt_i32 s73, 1
	s_cbranch_scc1 .LBB5_74
; %bb.67:                               ;   in Loop: Header=BB5_4 Depth=1
	s_add_i32 s30, s6, 1
	s_not_b32 s31, s6
	s_and_b64 s[28:29], s[8:9], exec
	s_cselect_b32 s34, s30, s31
	s_mov_b32 s35, 0
	s_mov_b32 s36, 0
	s_branch .LBB5_69
.LBB5_68:                               ;   in Loop: Header=BB5_69 Depth=2
	s_add_i32 s35, s35, 1
	s_cmp_eq_u32 s35, s73
	s_cbranch_scc1 .LBB5_73
.LBB5_69:                               ;   Parent Loop BB5_4 Depth=1
                                        ; =>  This Loop Header: Depth=2
                                        ;       Child Loop BB5_71 Depth 3
	s_lshl_b32 s28, s35, 1
	s_add_i32 s28, s28, s74
	s_ashr_i32 s29, s28, 31
	s_lshl_b64 s[28:29], s[28:29], 2
	s_add_u32 s30, s51, s28
	s_addc_u32 s31, s64, s29
	global_load_dwordx2 v[1:2], v15, s[30:31]
	s_waitcnt vmcnt(0)
	v_readfirstlane_b32 s30, v1
	v_readfirstlane_b32 s37, v2
	s_sub_i32 s38, s37, s30
	s_cmp_lt_i32 s38, 1
	s_cbranch_scc1 .LBB5_68
; %bb.70:                               ;   in Loop: Header=BB5_69 Depth=2
	s_add_u32 s28, s48, s28
	s_addc_u32 s29, s50, s29
	global_load_dwordx2 v[1:2], v15, s[28:29]
	s_add_i32 s28, s22, s36
	s_ashr_i32 s29, s28, 31
	s_lshl_b64 s[30:31], s[28:29], 2
	s_add_u32 s28, s56, s30
	s_addc_u32 s29, s57, s31
	s_add_u32 s30, s58, s30
	s_addc_u32 s31, s59, s31
	s_mov_b32 s39, 0
	s_waitcnt vmcnt(0)
	v_add_f32_e32 v1, v1, v2
	v_mul_f32_e32 v1, 0.5, v1
.LBB5_71:                               ;   Parent Loop BB5_4 Depth=1
                                        ;     Parent Loop BB5_69 Depth=2
                                        ; =>    This Inner Loop Header: Depth=3
	s_add_i32 s39, s39, 1
	global_store_dword v15, v1, s[28:29]
	s_add_u32 s28, s28, 4
	v_mov_b32_e32 v2, s34
	s_addc_u32 s29, s29, 0
	global_store_dword v15, v2, s[30:31]
	s_add_u32 s30, s30, 4
	s_addc_u32 s31, s31, 0
	s_cmp_ge_i32 s39, s38
	s_cbranch_scc0 .LBB5_71
; %bb.72:                               ;   in Loop: Header=BB5_69 Depth=2
	s_add_i32 s36, s36, s39
	s_branch .LBB5_68
.LBB5_73:                               ;   in Loop: Header=BB5_4 Depth=1
	v_mov_b32_e32 v4, s37
.LBB5_74:                               ;   in Loop: Header=BB5_4 Depth=1
	s_xor_b64 s[8:9], s[8:9], -1
	s_and_b64 vcc, exec, s[8:9]
	s_cbranch_vccz .LBB5_76
; %bb.75:                               ;   in Loop: Header=BB5_4 Depth=1
	global_store_dword v15, v17, s[14:15]
.LBB5_76:                               ;   in Loop: Header=BB5_4 Depth=1
	s_or_b64 exec, exec, s[10:11]
	s_branch .LBB5_3
.LBB5_77:                               ;   in Loop: Header=BB5_4 Depth=1
	s_and_saveexec_b64 s[8:9], s[2:3]
	s_cbranch_execz .LBB5_2
; %bb.78:                               ;   in Loop: Header=BB5_4 Depth=1
	s_ashr_i32 s23, s22, 31
	s_lshl_b64 s[10:11], s[22:23], 2
	s_add_u32 s22, s52, s10
	s_addc_u32 s23, s53, s11
	global_load_dword v1, v15, s[22:23]
	s_andn2_b64 vcc, exec, s[16:17]
	s_mov_b64 s[22:23], -1
	s_cbranch_vccnz .LBB5_83
; %bb.79:                               ;   in Loop: Header=BB5_4 Depth=1
	global_load_dword v3, v15, s[12:13]
	s_waitcnt vmcnt(1)
	v_subrev_f32_e32 v2, s63, v1
	s_mov_b64 s[22:23], 0
	s_waitcnt vmcnt(0)
	v_cmp_lt_f32_e32 vcc, v3, v2
	v_cmp_nlt_f32_e64 s[28:29], v3, v2
	s_cbranch_vccz .LBB5_81
; %bb.80:                               ;   in Loop: Header=BB5_4 Depth=1
	global_load_dword v3, v15, s[12:13] offset:4
	s_mov_b64 s[22:23], -1
	s_waitcnt vmcnt(0)
	v_cmp_nge_f32_e64 s[28:29], v3, v2
.LBB5_81:                               ;   in Loop: Header=BB5_4 Depth=1
	s_andn2_b64 vcc, exec, s[28:29]
	s_cbranch_vccnz .LBB5_83
; %bb.82:                               ;   in Loop: Header=BB5_4 Depth=1
	s_add_u32 s22, s65, s20
	s_addc_u32 s23, s66, s21
	global_store_dword v15, v15, s[22:23]
	s_mov_b64 s[22:23], 0
.LBB5_83:                               ;   in Loop: Header=BB5_4 Depth=1
	s_and_b64 vcc, exec, s[22:23]
	s_cbranch_vccz .LBB5_2
; %bb.84:                               ;   in Loop: Header=BB5_4 Depth=1
	s_add_u32 s22, s56, s10
	s_addc_u32 s23, s57, s11
	s_add_u32 s20, s65, s20
	s_addc_u32 s21, s66, s21
	s_add_i32 s7, s6, 1
	s_add_u32 s10, s58, s10
	s_waitcnt vmcnt(0)
	global_store_dword v15, v1, s[22:23]
	s_addc_u32 s11, s59, s11
	v_mov_b32_e32 v1, s7
	global_store_dword v15, v17, s[20:21]
	global_store_dword v15, v1, s[10:11]
	s_branch .LBB5_2
.LBB5_85:
	s_endpgm
	.section	.rodata,"a",@progbits
	.p2align	6, 0x0
	.amdhsa_kernel _ZN9rocsolver6v33100L22stebz_bisection_kernelIfPfEEv15rocblas_erange_iT_T0_iiS5_iiPiPS4_lS6_lS6_lS6_S6_S7_S7_S7_S7_S6_S4_S4_
		.amdhsa_group_segment_fixed_size 4616
		.amdhsa_private_segment_fixed_size 0
		.amdhsa_kernarg_size 168
		.amdhsa_user_sgpr_count 6
		.amdhsa_user_sgpr_private_segment_buffer 1
		.amdhsa_user_sgpr_dispatch_ptr 0
		.amdhsa_user_sgpr_queue_ptr 0
		.amdhsa_user_sgpr_kernarg_segment_ptr 1
		.amdhsa_user_sgpr_dispatch_id 0
		.amdhsa_user_sgpr_flat_scratch_init 0
		.amdhsa_user_sgpr_private_segment_size 0
		.amdhsa_uses_dynamic_stack 0
		.amdhsa_system_sgpr_private_segment_wavefront_offset 0
		.amdhsa_system_sgpr_workgroup_id_x 1
		.amdhsa_system_sgpr_workgroup_id_y 1
		.amdhsa_system_sgpr_workgroup_id_z 0
		.amdhsa_system_sgpr_workgroup_info 0
		.amdhsa_system_vgpr_workitem_id 0
		.amdhsa_next_free_vgpr 33
		.amdhsa_next_free_sgpr 84
		.amdhsa_reserve_vcc 1
		.amdhsa_reserve_flat_scratch 0
		.amdhsa_float_round_mode_32 0
		.amdhsa_float_round_mode_16_64 0
		.amdhsa_float_denorm_mode_32 3
		.amdhsa_float_denorm_mode_16_64 3
		.amdhsa_dx10_clamp 1
		.amdhsa_ieee_mode 1
		.amdhsa_fp16_overflow 0
		.amdhsa_exception_fp_ieee_invalid_op 0
		.amdhsa_exception_fp_denorm_src 0
		.amdhsa_exception_fp_ieee_div_zero 0
		.amdhsa_exception_fp_ieee_overflow 0
		.amdhsa_exception_fp_ieee_underflow 0
		.amdhsa_exception_fp_ieee_inexact 0
		.amdhsa_exception_int_div_zero 0
	.end_amdhsa_kernel
	.section	.text._ZN9rocsolver6v33100L22stebz_bisection_kernelIfPfEEv15rocblas_erange_iT_T0_iiS5_iiPiPS4_lS6_lS6_lS6_S6_S7_S7_S7_S7_S6_S4_S4_,"axG",@progbits,_ZN9rocsolver6v33100L22stebz_bisection_kernelIfPfEEv15rocblas_erange_iT_T0_iiS5_iiPiPS4_lS6_lS6_lS6_S6_S7_S7_S7_S7_S6_S4_S4_,comdat
.Lfunc_end5:
	.size	_ZN9rocsolver6v33100L22stebz_bisection_kernelIfPfEEv15rocblas_erange_iT_T0_iiS5_iiPiPS4_lS6_lS6_lS6_S6_S7_S7_S7_S7_S6_S4_S4_, .Lfunc_end5-_ZN9rocsolver6v33100L22stebz_bisection_kernelIfPfEEv15rocblas_erange_iT_T0_iiS5_iiPiPS4_lS6_lS6_lS6_S6_S7_S7_S7_S7_S6_S4_S4_
                                        ; -- End function
	.set _ZN9rocsolver6v33100L22stebz_bisection_kernelIfPfEEv15rocblas_erange_iT_T0_iiS5_iiPiPS4_lS6_lS6_lS6_S6_S7_S7_S7_S7_S6_S4_S4_.num_vgpr, 26
	.set _ZN9rocsolver6v33100L22stebz_bisection_kernelIfPfEEv15rocblas_erange_iT_T0_iiS5_iiPiPS4_lS6_lS6_lS6_S6_S7_S7_S7_S7_S6_S4_S4_.num_agpr, 0
	.set _ZN9rocsolver6v33100L22stebz_bisection_kernelIfPfEEv15rocblas_erange_iT_T0_iiS5_iiPiPS4_lS6_lS6_lS6_S6_S7_S7_S7_S7_S6_S4_S4_.numbered_sgpr, 84
	.set _ZN9rocsolver6v33100L22stebz_bisection_kernelIfPfEEv15rocblas_erange_iT_T0_iiS5_iiPiPS4_lS6_lS6_lS6_S6_S7_S7_S7_S7_S6_S4_S4_.num_named_barrier, 0
	.set _ZN9rocsolver6v33100L22stebz_bisection_kernelIfPfEEv15rocblas_erange_iT_T0_iiS5_iiPiPS4_lS6_lS6_lS6_S6_S7_S7_S7_S7_S6_S4_S4_.private_seg_size, 0
	.set _ZN9rocsolver6v33100L22stebz_bisection_kernelIfPfEEv15rocblas_erange_iT_T0_iiS5_iiPiPS4_lS6_lS6_lS6_S6_S7_S7_S7_S7_S6_S4_S4_.uses_vcc, 1
	.set _ZN9rocsolver6v33100L22stebz_bisection_kernelIfPfEEv15rocblas_erange_iT_T0_iiS5_iiPiPS4_lS6_lS6_lS6_S6_S7_S7_S7_S7_S6_S4_S4_.uses_flat_scratch, 0
	.set _ZN9rocsolver6v33100L22stebz_bisection_kernelIfPfEEv15rocblas_erange_iT_T0_iiS5_iiPiPS4_lS6_lS6_lS6_S6_S7_S7_S7_S7_S6_S4_S4_.has_dyn_sized_stack, 0
	.set _ZN9rocsolver6v33100L22stebz_bisection_kernelIfPfEEv15rocblas_erange_iT_T0_iiS5_iiPiPS4_lS6_lS6_lS6_S6_S7_S7_S7_S7_S6_S4_S4_.has_recursion, 0
	.set _ZN9rocsolver6v33100L22stebz_bisection_kernelIfPfEEv15rocblas_erange_iT_T0_iiS5_iiPiPS4_lS6_lS6_lS6_S6_S7_S7_S7_S7_S6_S4_S4_.has_indirect_call, 0
	.section	.AMDGPU.csdata,"",@progbits
; Kernel info:
; codeLenInByte = 3796
; TotalNumSgprs: 88
; NumVgprs: 26
; ScratchSize: 0
; MemoryBound: 0
; FloatMode: 240
; IeeeMode: 1
; LDSByteSize: 4616 bytes/workgroup (compile time only)
; SGPRBlocks: 10
; VGPRBlocks: 8
; NumSGPRsForWavesPerEU: 88
; NumVGPRsForWavesPerEU: 33
; Occupancy: 7
; WaveLimiterHint : 1
; COMPUTE_PGM_RSRC2:SCRATCH_EN: 0
; COMPUTE_PGM_RSRC2:USER_SGPR: 6
; COMPUTE_PGM_RSRC2:TRAP_HANDLER: 0
; COMPUTE_PGM_RSRC2:TGID_X_EN: 1
; COMPUTE_PGM_RSRC2:TGID_Y_EN: 1
; COMPUTE_PGM_RSRC2:TGID_Z_EN: 0
; COMPUTE_PGM_RSRC2:TIDIG_COMP_CNT: 0
	.section	.text._ZN9rocsolver6v33100L22stebz_synthesis_kernelIfPfEEv15rocblas_erange_15rocblas_eorder_iiiT0_iiPiS6_PT_lS6_lS6_liS6_S8_S8_S8_S8_S6_S7_,"axG",@progbits,_ZN9rocsolver6v33100L22stebz_synthesis_kernelIfPfEEv15rocblas_erange_15rocblas_eorder_iiiT0_iiPiS6_PT_lS6_lS6_liS6_S8_S8_S8_S8_S6_S7_,comdat
	.globl	_ZN9rocsolver6v33100L22stebz_synthesis_kernelIfPfEEv15rocblas_erange_15rocblas_eorder_iiiT0_iiPiS6_PT_lS6_lS6_liS6_S8_S8_S8_S8_S6_S7_ ; -- Begin function _ZN9rocsolver6v33100L22stebz_synthesis_kernelIfPfEEv15rocblas_erange_15rocblas_eorder_iiiT0_iiPiS6_PT_lS6_lS6_liS6_S8_S8_S8_S8_S6_S7_
	.p2align	8
	.type	_ZN9rocsolver6v33100L22stebz_synthesis_kernelIfPfEEv15rocblas_erange_15rocblas_eorder_iiiT0_iiPiS6_PT_lS6_lS6_liS6_S8_S8_S8_S8_S6_S7_,@function
_ZN9rocsolver6v33100L22stebz_synthesis_kernelIfPfEEv15rocblas_erange_15rocblas_eorder_iiiT0_iiPiS6_PT_lS6_lS6_liS6_S8_S8_S8_S8_S6_S7_: ; @_ZN9rocsolver6v33100L22stebz_synthesis_kernelIfPfEEv15rocblas_erange_15rocblas_eorder_iiiT0_iiPiS6_PT_lS6_lS6_liS6_S8_S8_S8_S8_S6_S7_
; %bb.0:
	s_load_dword s0, s[4:5], 0xb4
	s_load_dword s1, s[4:5], 0x68
	s_waitcnt lgkmcnt(0)
	s_and_b32 s0, s0, 0xffff
	s_mul_i32 s6, s6, s0
	v_add_u32_e32 v8, s6, v0
	v_cmp_gt_i32_e32 vcc, s1, v8
	s_and_saveexec_b64 s[0:1], vcc
	s_cbranch_execz .LBB6_61
; %bb.1:
	s_load_dwordx16 s[8:23], s[4:5], 0x28
	v_ashrrev_i32_e32 v9, 31, v8
	v_lshlrev_b64 v[4:5], 2, v[8:9]
	s_waitcnt lgkmcnt(0)
	v_mov_b32_e32 v1, s11
	v_add_co_u32_e32 v0, vcc, s10, v4
	v_addc_co_u32_e32 v1, vcc, v1, v5, vcc
	global_load_dword v26, v[0:1], off
	v_mul_lo_u32 v6, s15, v8
	v_mul_lo_u32 v7, s14, v9
	v_mad_u64_u32 v[0:1], s[0:1], s14, v8, 0
	v_mul_lo_u32 v12, s19, v8
	v_mul_lo_u32 v13, s18, v9
	v_mad_u64_u32 v[2:3], s[0:1], s18, v8, 0
	s_load_dwordx4 s[36:39], s[4:5], 0x0
	s_load_dword s33, s[4:5], 0x10
	s_load_dwordx8 s[24:31], s[4:5], 0x70
	v_mul_lo_u32 v15, s23, v8
	v_mul_lo_u32 v17, s22, v9
	v_mad_u64_u32 v[9:10], s[0:1], s22, v8, 0
	v_add3_u32 v1, v1, v7, v6
	v_lshlrev_b64 v[6:7], 2, v[0:1]
	s_waitcnt lgkmcnt(0)
	v_mul_lo_u32 v14, v8, s38
	v_add3_u32 v3, v3, v13, v12
	v_mov_b32_e32 v11, s13
	v_lshlrev_b64 v[12:13], 2, v[2:3]
	v_add_co_u32_e32 v0, vcc, s12, v6
	v_add3_u32 v10, v10, v17, v15
	v_addc_co_u32_e32 v1, vcc, v11, v7, vcc
	v_mov_b32_e32 v16, s17
	v_lshlrev_b64 v[9:10], 2, v[9:10]
	v_add_co_u32_e32 v2, vcc, s16, v12
	v_ashrrev_i32_e32 v15, 31, v14
	v_addc_co_u32_e32 v3, vcc, v16, v13, vcc
	v_mov_b32_e32 v18, s21
	v_lshlrev_b64 v[14:15], 2, v[14:15]
	v_add_co_u32_e32 v28, vcc, s20, v9
	v_addc_co_u32_e32 v30, vcc, v18, v10, vcc
	v_mov_b32_e32 v19, s25
	v_add_co_u32_e32 v27, vcc, s24, v14
	v_addc_co_u32_e32 v29, vcc, v19, v15, vcc
	s_cmpk_eq_i32 s36, 0xe9
	s_waitcnt vmcnt(0)
	v_cmp_lt_i32_e32 vcc, 0, v26
	v_cmp_gt_i32_e64 s[0:1], 1, v26
	s_cbranch_scc1 .LBB6_12
; %bb.2:
	v_mov_b32_e32 v10, 0
	s_and_saveexec_b64 s[6:7], vcc
	s_cbranch_execz .LBB6_14
; %bb.3:
	s_mov_b32 s15, 0
	s_mov_b64 s[10:11], 0
	v_mov_b32_e32 v10, 0
	s_mov_b32 s14, s15
	s_branch .LBB6_5
.LBB6_4:                                ;   in Loop: Header=BB6_5 Depth=1
	s_or_b64 exec, exec, s[18:19]
	s_add_i32 s14, s14, 1
	v_cmp_eq_u32_e32 vcc, s14, v26
	s_or_b64 s[10:11], vcc, s[10:11]
	s_andn2_b64 exec, exec, s[10:11]
	s_cbranch_execz .LBB6_13
.LBB6_5:                                ; =>This Loop Header: Depth=1
                                        ;     Child Loop BB6_10 Depth 2
	s_cmp_eq_u32 s14, 0
	s_cbranch_scc1 .LBB6_7
; %bb.6:                                ;   in Loop: Header=BB6_5 Depth=1
	s_lshl_b64 s[2:3], s[14:15], 2
	v_mov_b32_e32 v9, s3
	v_add_co_u32_e32 v14, vcc, s2, v28
	v_addc_co_u32_e32 v15, vcc, v30, v9, vcc
	global_load_dword v16, v[14:15], off offset:-4
	s_mov_b64 s[2:3], s[14:15]
	s_branch .LBB6_8
.LBB6_7:                                ;   in Loop: Header=BB6_5 Depth=1
	v_mov_b32_e32 v16, 0
	s_mov_b64 s[2:3], 0
.LBB6_8:                                ;   in Loop: Header=BB6_5 Depth=1
	s_lshl_b64 s[2:3], s[2:3], 2
	v_mov_b32_e32 v9, s3
	v_add_co_u32_e32 v14, vcc, s2, v27
	v_addc_co_u32_e32 v15, vcc, v29, v9, vcc
	global_load_dword v9, v[14:15], off
	s_waitcnt vmcnt(0)
	v_cmp_lt_i32_e32 vcc, 0, v9
	s_and_saveexec_b64 s[18:19], vcc
	s_cbranch_execz .LBB6_4
; %bb.9:                                ;   in Loop: Header=BB6_5 Depth=1
	v_ashrrev_i32_e32 v17, 31, v16
	v_ashrrev_i32_e32 v11, 31, v10
	v_lshlrev_b64 v[16:17], 2, v[16:17]
	v_lshlrev_b64 v[18:19], 2, v[10:11]
	v_mov_b32_e32 v21, v3
	v_mov_b32_e32 v23, v1
	s_mov_b32 s22, 0
	s_mov_b64 s[20:21], 0
	v_mov_b32_e32 v20, v2
	v_mov_b32_e32 v22, v0
.LBB6_10:                               ;   Parent Loop BB6_5 Depth=1
                                        ; =>  This Inner Loop Header: Depth=2
	v_add_co_u32_e32 v24, vcc, v20, v16
	v_addc_co_u32_e32 v25, vcc, v21, v17, vcc
	global_load_dword v9, v[24:25], off
	v_add_co_u32_e64 v31, s[2:3], v20, v18
	v_addc_co_u32_e64 v32, s[2:3], v21, v19, s[2:3]
	v_add_co_u32_e32 v24, vcc, v22, v16
	v_addc_co_u32_e32 v25, vcc, v23, v17, vcc
	s_add_i32 s22, s22, 1
	s_waitcnt vmcnt(0)
	global_store_dword v[31:32], v9, off
	global_load_dword v11, v[14:15], off
	s_nop 0
	global_load_dword v31, v[24:25], off
	v_add_co_u32_e32 v24, vcc, v22, v18
	v_addc_co_u32_e32 v25, vcc, v23, v19, vcc
	v_add_co_u32_e32 v22, vcc, 4, v22
	v_addc_co_u32_e32 v23, vcc, 0, v23, vcc
	;; [unrolled: 2-line block ×3, first 2 shown]
	v_add_u32_e32 v9, s22, v10
	s_waitcnt vmcnt(1)
	v_cmp_ge_i32_e32 vcc, s22, v11
	s_or_b64 s[20:21], vcc, s[20:21]
	s_waitcnt vmcnt(0)
	global_store_dword v[24:25], v31, off
	s_andn2_b64 exec, exec, s[20:21]
	s_cbranch_execnz .LBB6_10
; %bb.11:                               ;   in Loop: Header=BB6_5 Depth=1
	s_or_b64 exec, exec, s[20:21]
	v_mov_b32_e32 v10, v9
	s_branch .LBB6_4
.LBB6_12:
                                        ; implicit-def: $vgpr10
	s_branch .LBB6_15
.LBB6_13:
	s_or_b64 exec, exec, s[10:11]
.LBB6_14:
	s_or_b64 exec, exec, s[6:7]
	s_cbranch_execnz .LBB6_53
.LBB6_15:
	v_mov_b32_e32 v10, s27
	v_add_co_u32_e32 v9, vcc, s26, v4
	v_addc_co_u32_e32 v10, vcc, v10, v5, vcc
	global_load_dword v25, v[9:10], off
	v_lshlrev_b32_e32 v14, 1, v8
	s_load_dwordx4 s[20:23], s[4:5], 0x90
	v_mul_lo_u32 v10, v14, s38
                                        ; implicit-def: $sgpr2_sgpr3
	v_ashrrev_i32_e32 v11, 31, v10
	s_and_saveexec_b64 s[6:7], s[0:1]
	s_xor_b64 s[0:1], exec, s[6:7]
; %bb.16:
	s_ashr_i32 s3, s38, 31
	s_mov_b32 s2, s38
                                        ; implicit-def: $vgpr26
                                        ; implicit-def: $vgpr27
                                        ; implicit-def: $vgpr29
                                        ; implicit-def: $vgpr28
                                        ; implicit-def: $vgpr30
                                        ; implicit-def: $vgpr12_vgpr13
; %bb.17:
	s_or_saveexec_b64 s[6:7], s[0:1]
	v_lshlrev_b64 v[15:16], 2, v[10:11]
	v_mov_b32_e32 v11, s3
	v_mov_b32_e32 v9, 0
	;; [unrolled: 1-line block ×3, first 2 shown]
	s_xor_b64 exec, exec, s[6:7]
	s_cbranch_execz .LBB6_28
; %bb.18:
	v_mov_b32_e32 v9, s13
	v_add_co_u32_e32 v31, vcc, s12, v6
	v_addc_co_u32_e32 v32, vcc, v9, v7, vcc
	v_mov_b32_e32 v9, s17
	v_add_co_u32_e32 v33, vcc, s16, v12
	v_addc_co_u32_e32 v13, vcc, v9, v13, vcc
	s_waitcnt lgkmcnt(0)
	v_mov_b32_e32 v9, s21
	v_add_co_u32_e32 v34, vcc, s20, v15
	v_addc_co_u32_e32 v35, vcc, v9, v16, vcc
	s_ashr_i32 s11, s38, 31
	s_mov_b32 s10, s38
	v_mov_b32_e32 v9, s23
	v_add_co_u32_e32 v36, vcc, s22, v15
	s_mov_b32 s25, 0
	s_lshl_b64 s[14:15], s[10:11], 2
	v_addc_co_u32_e32 v37, vcc, v9, v16, vcc
	s_mov_b64 s[18:19], 0
	v_mov_b32_e32 v9, 0
	s_mov_b32 s24, s25
	s_branch .LBB6_20
.LBB6_19:                               ;   in Loop: Header=BB6_20 Depth=1
	s_or_b64 exec, exec, s[26:27]
	s_add_i32 s24, s24, 1
	v_cmp_eq_u32_e32 vcc, s24, v26
	s_or_b64 s[18:19], vcc, s[18:19]
	s_andn2_b64 exec, exec, s[18:19]
	s_cbranch_execz .LBB6_27
.LBB6_20:                               ; =>This Loop Header: Depth=1
                                        ;     Child Loop BB6_25 Depth 2
	s_cmp_eq_u32 s24, 0
	s_cbranch_scc1 .LBB6_22
; %bb.21:                               ;   in Loop: Header=BB6_20 Depth=1
	s_lshl_b64 s[0:1], s[24:25], 2
	v_mov_b32_e32 v11, s1
	v_add_co_u32_e32 v10, vcc, s0, v28
	v_addc_co_u32_e32 v11, vcc, v30, v11, vcc
	global_load_dword v17, v[10:11], off offset:-4
	s_mov_b64 s[0:1], s[24:25]
	s_branch .LBB6_23
.LBB6_22:                               ;   in Loop: Header=BB6_20 Depth=1
	v_mov_b32_e32 v17, 0
	s_mov_b64 s[0:1], 0
.LBB6_23:                               ;   in Loop: Header=BB6_20 Depth=1
	s_lshl_b64 s[0:1], s[0:1], 2
	v_mov_b32_e32 v10, s1
	v_add_co_u32_e32 v11, vcc, s0, v27
	v_addc_co_u32_e32 v12, vcc, v29, v10, vcc
	global_load_dword v10, v[11:12], off
	s_waitcnt vmcnt(0)
	v_cmp_lt_i32_e32 vcc, 0, v10
	s_and_saveexec_b64 s[26:27], vcc
	s_cbranch_execz .LBB6_19
; %bb.24:                               ;   in Loop: Header=BB6_20 Depth=1
	v_ashrrev_i32_e32 v18, 31, v17
	v_lshlrev_b64 v[19:20], 2, v[17:18]
	v_ashrrev_i32_e32 v10, 31, v9
	v_add_co_u32_e32 v17, vcc, v31, v19
	v_addc_co_u32_e32 v18, vcc, v32, v20, vcc
	v_add_co_u32_e32 v19, vcc, v33, v19
	v_lshlrev_b64 v[23:24], 2, v[9:10]
	v_addc_co_u32_e32 v20, vcc, v13, v20, vcc
	v_add_co_u32_e32 v21, vcc, v34, v23
	v_addc_co_u32_e32 v22, vcc, v35, v24, vcc
	v_add_co_u32_e32 v23, vcc, v36, v23
	v_addc_co_u32_e32 v24, vcc, v37, v24, vcc
	s_mov_b32 s36, 0
	s_mov_b64 s[34:35], 0
.LBB6_25:                               ;   Parent Loop BB6_20 Depth=1
                                        ; =>  This Inner Loop Header: Depth=2
	global_load_dword v10, v[19:20], off
	v_add_co_u32_e64 v19, s[0:1], 4, v19
	v_add_co_u32_e64 v38, s[2:3], s14, v21
	s_add_i32 s36, s36, 1
	s_waitcnt vmcnt(0)
	global_store_dword v[23:24], v10, off
	global_load_dword v40, v[11:12], off
	global_load_dword v41, v[17:18], off
	v_mov_b32_e32 v10, s15
	v_add_co_u32_e32 v17, vcc, 4, v17
	v_addc_co_u32_e32 v18, vcc, 0, v18, vcc
	v_addc_co_u32_e64 v20, vcc, 0, v20, s[0:1]
	v_addc_co_u32_e64 v39, vcc, v22, v10, s[2:3]
	v_add_co_u32_e64 v23, s[0:1], 4, v23
	v_add_u32_e32 v10, s36, v9
	s_waitcnt vmcnt(0)
	global_store_dword v[21:22], v41, off
	global_store_dword v[38:39], v41, off
	v_add_co_u32_e32 v21, vcc, 4, v21
	v_addc_co_u32_e32 v22, vcc, 0, v22, vcc
	v_cmp_ge_i32_e32 vcc, s36, v40
	s_or_b64 s[34:35], vcc, s[34:35]
	v_addc_co_u32_e64 v24, vcc, 0, v24, s[0:1]
	s_andn2_b64 exec, exec, s[34:35]
	s_cbranch_execnz .LBB6_25
; %bb.26:                               ;   in Loop: Header=BB6_20 Depth=1
	s_or_b64 exec, exec, s[34:35]
	v_mov_b32_e32 v9, v10
	s_branch .LBB6_19
.LBB6_27:
	s_or_b64 exec, exec, s[18:19]
	v_mov_b32_e32 v10, s10
	v_mov_b32_e32 v11, s11
.LBB6_28:
	s_or_b64 exec, exec, s[6:7]
; %bb.29:
	s_waitcnt lgkmcnt(0)
	v_mov_b32_e32 v12, s21
	v_add_co_u32_e32 v24, vcc, s20, v15
	v_addc_co_u32_e32 v26, vcc, v12, v16, vcc
	v_mov_b32_e32 v12, s23
	v_add_co_u32_e32 v27, vcc, s22, v15
	v_lshlrev_b64 v[10:11], 2, v[10:11]
	v_addc_co_u32_e32 v28, vcc, v12, v16, vcc
	v_add_co_u32_e32 v12, vcc, v24, v10
	v_addc_co_u32_e32 v13, vcc, v26, v11, vcc
	s_mov_b32 s0, 1
	v_cmp_lt_i32_e32 vcc, 1, v9
	s_and_saveexec_b64 s[2:3], vcc
	s_cbranch_execz .LBB6_37
; %bb.30:
	v_add_co_u32_e32 v20, vcc, v27, v10
	v_addc_co_u32_e32 v21, vcc, v28, v11, vcc
	v_add_co_u32_e32 v10, vcc, v10, v15
	v_addc_co_u32_e32 v11, vcc, v11, v16, vcc
	v_mov_b32_e32 v15, s21
	v_add_co_u32_e32 v10, vcc, s20, v10
	v_addc_co_u32_e32 v11, vcc, v15, v11, vcc
	s_cmp_lg_u64 s[22:23], 0
	v_add_co_u32_e32 v10, vcc, 4, v10
	s_mov_b64 s[6:7], 0
	s_cselect_b64 s[10:11], -1, 0
	v_addc_co_u32_e32 v11, vcc, 0, v11, vcc
	s_branch .LBB6_32
.LBB6_31:                               ;   in Loop: Header=BB6_32 Depth=1
	s_or_b64 exec, exec, s[18:19]
	s_add_i32 s0, s0, 1
	v_cmp_eq_u32_e32 vcc, s0, v9
	s_or_b64 s[6:7], vcc, s[6:7]
	v_add_co_u32_e32 v10, vcc, 4, v10
	v_addc_co_u32_e32 v11, vcc, 0, v11, vcc
	s_andn2_b64 exec, exec, s[6:7]
	s_cbranch_execz .LBB6_37
.LBB6_32:                               ; =>This Loop Header: Depth=1
                                        ;     Child Loop BB6_33 Depth 2
	s_ashr_i32 s1, s0, 31
	s_lshl_b64 s[14:15], s[0:1], 2
	v_mov_b32_e32 v16, s15
	v_add_co_u32_e32 v15, vcc, s14, v12
	v_addc_co_u32_e32 v16, vcc, v13, v16, vcc
	global_load_dword v22, v[15:16], off offset:-4
	s_add_i32 s1, s0, -1
	v_mov_b32_e32 v19, v11
	v_mov_b32_e32 v17, s1
	s_mov_b64 s[18:19], 0
	v_mov_b32_e32 v18, v10
	s_mov_b32 s20, s0
	s_waitcnt vmcnt(0)
	v_mov_b32_e32 v23, v22
.LBB6_33:                               ;   Parent Loop BB6_32 Depth=1
                                        ; =>  This Inner Loop Header: Depth=2
	global_load_dword v29, v[18:19], off
	v_add_co_u32_e32 v18, vcc, 4, v18
	v_mov_b32_e32 v30, s20
	s_add_i32 s20, s20, 1
	v_addc_co_u32_e32 v19, vcc, 0, v19, vcc
	v_cmp_eq_u32_e32 vcc, s20, v9
	s_or_b64 s[18:19], vcc, s[18:19]
	s_waitcnt vmcnt(0)
	v_cmp_lt_f32_e32 vcc, v29, v23
	v_cndmask_b32_e32 v23, v23, v29, vcc
	v_cndmask_b32_e32 v17, v17, v30, vcc
	s_andn2_b64 exec, exec, s[18:19]
	s_cbranch_execnz .LBB6_33
; %bb.34:                               ;   in Loop: Header=BB6_32 Depth=1
	s_or_b64 exec, exec, s[18:19]
	v_cmp_ne_u32_e32 vcc, s1, v17
	s_and_saveexec_b64 s[18:19], vcc
	s_cbranch_execz .LBB6_31
; %bb.35:                               ;   in Loop: Header=BB6_32 Depth=1
	v_ashrrev_i32_e32 v18, 31, v17
	v_lshlrev_b64 v[17:18], 2, v[17:18]
	v_add_co_u32_e32 v29, vcc, v12, v17
	v_addc_co_u32_e32 v30, vcc, v13, v18, vcc
	s_andn2_b64 vcc, exec, s[10:11]
	global_store_dword v[29:30], v22, off
	global_store_dword v[15:16], v23, off offset:-4
	s_cbranch_vccnz .LBB6_31
; %bb.36:                               ;   in Loop: Header=BB6_32 Depth=1
	v_mov_b32_e32 v16, s15
	v_add_co_u32_e32 v15, vcc, s14, v20
	v_addc_co_u32_e32 v16, vcc, v21, v16, vcc
	v_add_co_u32_e32 v17, vcc, v20, v17
	v_addc_co_u32_e32 v18, vcc, v21, v18, vcc
	global_load_dword v19, v[15:16], off offset:-4
	global_load_dword v22, v[17:18], off
	s_waitcnt vmcnt(1)
	global_store_dword v[17:18], v19, off
	s_waitcnt vmcnt(1)
	global_store_dword v[15:16], v22, off offset:-4
	s_branch .LBB6_31
.LBB6_37:
	s_or_b64 exec, exec, s[2:3]
	v_mov_b32_e32 v10, 0
	v_cmp_lt_i32_e32 vcc, 0, v9
	s_and_saveexec_b64 s[6:7], vcc
	s_cbranch_execz .LBB6_52
; %bb.38:
	s_load_dwordx4 s[0:3], s[4:5], 0x18
	s_add_i32 s26, s38, -1
	v_mul_lo_u32 v18, v8, s26
	v_mov_b32_e32 v20, s31
	v_add_u32_e32 v30, -1, v9
	s_waitcnt lgkmcnt(0)
	v_mad_i64_i32 v[10:11], s[10:11], v8, s3, 0
	s_ashr_i32 s5, s2, 31
	s_mov_b32 s4, s2
	v_lshlrev_b64 v[10:11], 2, v[10:11]
	v_mov_b32_e32 v15, s1
	v_add_co_u32_e32 v16, vcc, s0, v10
	s_lshl_b64 s[4:5], s[4:5], 2
	v_addc_co_u32_e32 v15, vcc, v15, v11, vcc
	v_ashrrev_i32_e32 v19, 31, v18
	v_mov_b32_e32 v17, s5
	v_add_co_u32_e32 v16, vcc, s4, v16
	v_lshlrev_b64 v[18:19], 2, v[18:19]
	v_addc_co_u32_e32 v17, vcc, v15, v17, vcc
	v_ashrrev_i32_e32 v15, 31, v14
	v_mov_b32_e32 v8, s29
	v_add_co_u32_e32 v18, vcc, s28, v18
	v_lshlrev_b64 v[14:15], 2, v[14:15]
	v_addc_co_u32_e32 v19, vcc, v8, v19, vcc
	s_cmp_gt_i32 s38, 1
	v_add_co_u32_e32 v8, vcc, s30, v14
	s_cselect_b64 s[2:3], -1, 0
	s_add_u32 s0, s0, s4
	v_addc_co_u32_e32 v29, vcc, v20, v15, vcc
	s_addc_u32 s1, s1, s5
	v_mov_b32_e32 v14, s1
	v_add_co_u32_e32 v10, vcc, s0, v10
	v_addc_co_u32_e32 v11, vcc, v14, v11, vcc
	v_add_co_u32_e32 v14, vcc, 4, v10
	s_mov_b32 s11, 0
	v_addc_co_u32_e32 v15, vcc, 0, v11, vcc
	s_mov_b64 s[4:5], 0
	v_mov_b32_e32 v10, 0
	s_mov_b32 s10, s11
	s_branch .LBB6_41
.LBB6_39:                               ;   in Loop: Header=BB6_41 Depth=1
	s_or_b64 exec, exec, s[0:1]
.LBB6_40:                               ;   in Loop: Header=BB6_41 Depth=1
	s_or_b64 exec, exec, s[18:19]
	s_add_i32 s10, s10, 1
	v_cmp_eq_u32_e32 vcc, s10, v9
	s_or_b64 s[4:5], vcc, s[4:5]
	s_andn2_b64 exec, exec, s[4:5]
	s_cbranch_execz .LBB6_51
.LBB6_41:                               ; =>This Loop Header: Depth=1
                                        ;     Child Loop BB6_43 Depth 2
                                        ;     Child Loop BB6_48 Depth 2
	s_lshl_b64 s[14:15], s[10:11], 2
	v_mov_b32_e32 v11, s15
	v_add_co_u32_e32 v20, vcc, s14, v24
	v_addc_co_u32_e32 v21, vcc, v26, v11, vcc
	global_load_dword v31, v[20:21], off
	v_mov_b32_e32 v23, v13
	s_mov_b64 s[18:19], 0
	v_mov_b32_e32 v22, v12
	s_mov_b32 s27, s11
                                        ; implicit-def: $sgpr0_sgpr1
                                        ; implicit-def: $sgpr22_sgpr23
                                        ; implicit-def: $sgpr20_sgpr21
	s_branch .LBB6_43
.LBB6_42:                               ;   in Loop: Header=BB6_43 Depth=2
	s_or_b64 exec, exec, s[24:25]
	s_and_b64 s[24:25], exec, s[22:23]
	s_or_b64 s[18:19], s[24:25], s[18:19]
	s_andn2_b64 s[0:1], s[0:1], exec
	s_and_b64 s[24:25], s[20:21], exec
	v_mov_b32_e32 v32, s27
	s_or_b64 s[0:1], s[0:1], s[24:25]
	s_mov_b32 s27, s28
	s_andn2_b64 exec, exec, s[18:19]
	s_cbranch_execz .LBB6_45
.LBB6_43:                               ;   Parent Loop BB6_41 Depth=1
                                        ; =>  This Inner Loop Header: Depth=2
	global_load_dword v11, v[22:23], off
	v_mov_b32_e32 v20, v22
	v_mov_b32_e32 v21, v23
	s_or_b64 s[20:21], s[20:21], exec
	s_or_b64 s[22:23], s[22:23], exec
                                        ; implicit-def: $sgpr28
                                        ; implicit-def: $vgpr22_vgpr23
	s_waitcnt vmcnt(0)
	v_cmp_neq_f32_e32 vcc, v31, v11
	s_and_saveexec_b64 s[24:25], vcc
	s_cbranch_execz .LBB6_42
; %bb.44:                               ;   in Loop: Header=BB6_43 Depth=2
	v_add_co_u32_e32 v22, vcc, 4, v20
	s_add_i32 s28, s27, 1
	v_addc_co_u32_e32 v23, vcc, 0, v21, vcc
	v_cmp_eq_u32_e32 vcc, s28, v9
	s_andn2_b64 s[22:23], s[22:23], exec
	s_and_b64 s[30:31], vcc, exec
	s_andn2_b64 s[20:21], s[20:21], exec
	s_or_b64 s[22:23], s[22:23], s[30:31]
	s_branch .LBB6_42
.LBB6_45:                               ;   in Loop: Header=BB6_41 Depth=1
	s_or_b64 exec, exec, s[18:19]
	s_and_saveexec_b64 s[18:19], s[0:1]
	s_xor_b64 s[18:19], exec, s[18:19]
	s_cbranch_execz .LBB6_40
; %bb.46:                               ;   in Loop: Header=BB6_41 Depth=1
	v_cmp_eq_u32_e32 vcc, v32, v30
	v_cndmask_b32_e32 v21, v21, v29, vcc
	v_cndmask_b32_e32 v20, v20, v8, vcc
	global_load_dword v22, v[20:21], off offset:4
	global_load_dword v23, v[16:17], off
	s_andn2_b64 vcc, exec, s[2:3]
	s_waitcnt vmcnt(1)
	v_sub_f32_e32 v11, v22, v11
	v_fma_f32 v32, 0.5, v11, v31
	s_waitcnt vmcnt(0)
	v_sub_f32_e32 v20, v23, v32
	v_cmp_le_f32_e64 s[0:1], v20, v25
	v_cndmask_b32_e64 v11, 0, 1, s[0:1]
	s_cbranch_vccnz .LBB6_49
; %bb.47:                               ;   in Loop: Header=BB6_41 Depth=1
	v_cmp_gt_f32_e64 s[20:21], v20, -v25
	s_and_b64 s[0:1], s[0:1], s[20:21]
	v_cndmask_b32_e64 v33, v20, -v25, s[0:1]
	v_mov_b32_e32 v21, v19
	v_mov_b32_e32 v23, v15
	;; [unrolled: 1-line block ×4, first 2 shown]
	s_mov_b32 s20, s26
.LBB6_48:                               ;   Parent Loop BB6_41 Depth=1
                                        ; =>  This Inner Loop Header: Depth=2
	global_load_dword v34, v[20:21], off
	global_load_dword v35, v[22:23], off
	s_add_i32 s20, s20, -1
	s_waitcnt vmcnt(1)
	v_div_scale_f32 v36, s[0:1], v33, v33, v34
	v_div_scale_f32 v37, vcc, v34, v33, v34
	s_waitcnt vmcnt(0)
	v_sub_f32_e32 v35, v35, v32
	v_rcp_f32_e32 v38, v36
	v_fma_f32 v39, -v36, v38, 1.0
	v_fmac_f32_e32 v38, v39, v38
	v_mul_f32_e32 v39, v37, v38
	v_fma_f32 v40, -v36, v39, v37
	v_fmac_f32_e32 v39, v40, v38
	v_fma_f32 v36, -v36, v39, v37
	v_div_fmas_f32 v36, v36, v38, v39
	v_add_co_u32_e32 v22, vcc, 4, v22
	v_addc_co_u32_e32 v23, vcc, 0, v23, vcc
	v_add_co_u32_e32 v20, vcc, 4, v20
	v_addc_co_u32_e32 v21, vcc, 0, v21, vcc
	v_div_fixup_f32 v33, v36, v33, v34
	v_sub_f32_e32 v33, v35, v33
	v_cmp_le_f32_e32 vcc, v33, v25
	v_cmp_gt_f32_e64 s[22:23], v33, -v25
	v_addc_co_u32_e64 v11, s[0:1], 0, v11, vcc
	s_and_b64 s[0:1], vcc, s[22:23]
	s_cmp_lg_u32 s20, 0
	v_cndmask_b32_e64 v33, v33, -v25, s[0:1]
	s_cbranch_scc1 .LBB6_48
.LBB6_49:                               ;   in Loop: Header=BB6_41 Depth=1
	v_cmp_le_i32_e32 vcc, s39, v11
	v_cmp_ge_i32_e64 s[0:1], s33, v11
	s_and_b64 s[20:21], vcc, s[0:1]
	s_and_saveexec_b64 s[0:1], s[20:21]
	s_cbranch_execz .LBB6_39
; %bb.50:                               ;   in Loop: Header=BB6_41 Depth=1
	v_mov_b32_e32 v11, s15
	v_add_co_u32_e32 v20, vcc, s14, v27
	v_addc_co_u32_e32 v21, vcc, v28, v11, vcc
	global_load_dword v32, v[20:21], off
	v_ashrrev_i32_e32 v11, 31, v10
	v_lshlrev_b64 v[20:21], 2, v[10:11]
	v_add_u32_e32 v10, 1, v10
	v_add_co_u32_e32 v22, vcc, v0, v20
	v_addc_co_u32_e32 v23, vcc, v1, v21, vcc
	v_add_co_u32_e32 v20, vcc, v2, v20
	v_addc_co_u32_e32 v21, vcc, v3, v21, vcc
	global_store_dword v[22:23], v31, off
	s_waitcnt vmcnt(1)
	global_store_dword v[20:21], v32, off
	s_branch .LBB6_39
.LBB6_51:
	s_or_b64 exec, exec, s[4:5]
.LBB6_52:
	s_or_b64 exec, exec, s[6:7]
.LBB6_53:
	v_mov_b32_e32 v8, s9
	v_add_co_u32_e32 v4, vcc, s8, v4
	v_addc_co_u32_e32 v5, vcc, v8, v5, vcc
	s_cmpk_eq_i32 s37, 0xf2
	s_cselect_b64 s[0:1], -1, 0
	v_cmp_lt_i32_e32 vcc, 1, v10
	s_mov_b32 s2, 1
	s_and_b64 s[0:1], s[0:1], vcc
	global_store_dword v[4:5], v10, off
	s_and_b64 exec, exec, s[0:1]
	s_cbranch_execz .LBB6_61
; %bb.54:
	v_mov_b32_e32 v4, s13
	v_add_co_u32_e32 v5, vcc, s12, v6
	s_cmp_lg_u64 s[16:17], 0
	v_addc_co_u32_e32 v6, vcc, v4, v7, vcc
	v_add_co_u32_e32 v4, vcc, 4, v5
	s_cselect_b64 s[0:1], -1, 0
	v_addc_co_u32_e32 v5, vcc, 0, v6, vcc
	v_cndmask_b32_e64 v6, 0, 1, s[0:1]
	s_mov_b64 s[4:5], 0
	v_cmp_ne_u32_e64 s[0:1], 1, v6
	s_branch .LBB6_56
.LBB6_55:                               ;   in Loop: Header=BB6_56 Depth=1
	s_or_b64 exec, exec, s[8:9]
	s_add_i32 s2, s2, 1
	v_cmp_eq_u32_e32 vcc, s2, v10
	s_or_b64 s[4:5], vcc, s[4:5]
	v_add_co_u32_e32 v4, vcc, 4, v4
	v_addc_co_u32_e32 v5, vcc, 0, v5, vcc
	s_andn2_b64 exec, exec, s[4:5]
	s_cbranch_execz .LBB6_61
.LBB6_56:                               ; =>This Loop Header: Depth=1
                                        ;     Child Loop BB6_57 Depth 2
	s_ashr_i32 s3, s2, 31
	s_lshl_b64 s[6:7], s[2:3], 2
	v_mov_b32_e32 v7, s7
	v_add_co_u32_e32 v6, vcc, s6, v0
	v_addc_co_u32_e32 v7, vcc, v1, v7, vcc
	global_load_dword v13, v[6:7], off offset:-4
	s_add_i32 s3, s2, -1
	v_mov_b32_e32 v12, v5
	v_mov_b32_e32 v8, s3
	s_mov_b64 s[8:9], 0
	v_mov_b32_e32 v11, v4
	s_mov_b32 s10, s2
	s_waitcnt vmcnt(0)
	v_mov_b32_e32 v14, v13
.LBB6_57:                               ;   Parent Loop BB6_56 Depth=1
                                        ; =>  This Inner Loop Header: Depth=2
	global_load_dword v9, v[11:12], off
	v_add_co_u32_e32 v11, vcc, 4, v11
	v_mov_b32_e32 v15, s10
	s_add_i32 s10, s10, 1
	v_addc_co_u32_e32 v12, vcc, 0, v12, vcc
	v_cmp_eq_u32_e32 vcc, s10, v10
	s_or_b64 s[8:9], vcc, s[8:9]
	s_waitcnt vmcnt(0)
	v_cmp_lt_f32_e32 vcc, v9, v14
	v_cndmask_b32_e32 v14, v14, v9, vcc
	v_cndmask_b32_e32 v8, v8, v15, vcc
	s_andn2_b64 exec, exec, s[8:9]
	s_cbranch_execnz .LBB6_57
; %bb.58:                               ;   in Loop: Header=BB6_56 Depth=1
	s_or_b64 exec, exec, s[8:9]
	v_cmp_ne_u32_e32 vcc, s3, v8
	s_and_saveexec_b64 s[8:9], vcc
	s_cbranch_execz .LBB6_55
; %bb.59:                               ;   in Loop: Header=BB6_56 Depth=1
	v_ashrrev_i32_e32 v9, 31, v8
	v_lshlrev_b64 v[8:9], 2, v[8:9]
	v_add_co_u32_e32 v11, vcc, v0, v8
	v_addc_co_u32_e32 v12, vcc, v1, v9, vcc
	s_and_b64 vcc, exec, s[0:1]
	global_store_dword v[11:12], v13, off
	global_store_dword v[6:7], v14, off offset:-4
	s_cbranch_vccnz .LBB6_55
; %bb.60:                               ;   in Loop: Header=BB6_56 Depth=1
	v_mov_b32_e32 v7, s7
	v_add_co_u32_e32 v6, vcc, s6, v2
	v_addc_co_u32_e32 v7, vcc, v3, v7, vcc
	v_add_co_u32_e32 v8, vcc, v2, v8
	v_addc_co_u32_e32 v9, vcc, v3, v9, vcc
	global_load_dword v11, v[6:7], off offset:-4
	global_load_dword v12, v[8:9], off
	s_waitcnt vmcnt(1)
	global_store_dword v[8:9], v11, off
	s_waitcnt vmcnt(1)
	global_store_dword v[6:7], v12, off offset:-4
	s_branch .LBB6_55
.LBB6_61:
	s_endpgm
	.section	.rodata,"a",@progbits
	.p2align	6, 0x0
	.amdhsa_kernel _ZN9rocsolver6v33100L22stebz_synthesis_kernelIfPfEEv15rocblas_erange_15rocblas_eorder_iiiT0_iiPiS6_PT_lS6_lS6_liS6_S8_S8_S8_S8_S6_S7_
		.amdhsa_group_segment_fixed_size 0
		.amdhsa_private_segment_fixed_size 0
		.amdhsa_kernarg_size 424
		.amdhsa_user_sgpr_count 6
		.amdhsa_user_sgpr_private_segment_buffer 1
		.amdhsa_user_sgpr_dispatch_ptr 0
		.amdhsa_user_sgpr_queue_ptr 0
		.amdhsa_user_sgpr_kernarg_segment_ptr 1
		.amdhsa_user_sgpr_dispatch_id 0
		.amdhsa_user_sgpr_flat_scratch_init 0
		.amdhsa_user_sgpr_private_segment_size 0
		.amdhsa_uses_dynamic_stack 0
		.amdhsa_system_sgpr_private_segment_wavefront_offset 0
		.amdhsa_system_sgpr_workgroup_id_x 1
		.amdhsa_system_sgpr_workgroup_id_y 0
		.amdhsa_system_sgpr_workgroup_id_z 0
		.amdhsa_system_sgpr_workgroup_info 0
		.amdhsa_system_vgpr_workitem_id 0
		.amdhsa_next_free_vgpr 42
		.amdhsa_next_free_sgpr 40
		.amdhsa_reserve_vcc 1
		.amdhsa_reserve_flat_scratch 0
		.amdhsa_float_round_mode_32 0
		.amdhsa_float_round_mode_16_64 0
		.amdhsa_float_denorm_mode_32 3
		.amdhsa_float_denorm_mode_16_64 3
		.amdhsa_dx10_clamp 1
		.amdhsa_ieee_mode 1
		.amdhsa_fp16_overflow 0
		.amdhsa_exception_fp_ieee_invalid_op 0
		.amdhsa_exception_fp_denorm_src 0
		.amdhsa_exception_fp_ieee_div_zero 0
		.amdhsa_exception_fp_ieee_overflow 0
		.amdhsa_exception_fp_ieee_underflow 0
		.amdhsa_exception_fp_ieee_inexact 0
		.amdhsa_exception_int_div_zero 0
	.end_amdhsa_kernel
	.section	.text._ZN9rocsolver6v33100L22stebz_synthesis_kernelIfPfEEv15rocblas_erange_15rocblas_eorder_iiiT0_iiPiS6_PT_lS6_lS6_liS6_S8_S8_S8_S8_S6_S7_,"axG",@progbits,_ZN9rocsolver6v33100L22stebz_synthesis_kernelIfPfEEv15rocblas_erange_15rocblas_eorder_iiiT0_iiPiS6_PT_lS6_lS6_liS6_S8_S8_S8_S8_S6_S7_,comdat
.Lfunc_end6:
	.size	_ZN9rocsolver6v33100L22stebz_synthesis_kernelIfPfEEv15rocblas_erange_15rocblas_eorder_iiiT0_iiPiS6_PT_lS6_lS6_liS6_S8_S8_S8_S8_S6_S7_, .Lfunc_end6-_ZN9rocsolver6v33100L22stebz_synthesis_kernelIfPfEEv15rocblas_erange_15rocblas_eorder_iiiT0_iiPiS6_PT_lS6_lS6_liS6_S8_S8_S8_S8_S6_S7_
                                        ; -- End function
	.set _ZN9rocsolver6v33100L22stebz_synthesis_kernelIfPfEEv15rocblas_erange_15rocblas_eorder_iiiT0_iiPiS6_PT_lS6_lS6_liS6_S8_S8_S8_S8_S6_S7_.num_vgpr, 42
	.set _ZN9rocsolver6v33100L22stebz_synthesis_kernelIfPfEEv15rocblas_erange_15rocblas_eorder_iiiT0_iiPiS6_PT_lS6_lS6_liS6_S8_S8_S8_S8_S6_S7_.num_agpr, 0
	.set _ZN9rocsolver6v33100L22stebz_synthesis_kernelIfPfEEv15rocblas_erange_15rocblas_eorder_iiiT0_iiPiS6_PT_lS6_lS6_liS6_S8_S8_S8_S8_S6_S7_.numbered_sgpr, 40
	.set _ZN9rocsolver6v33100L22stebz_synthesis_kernelIfPfEEv15rocblas_erange_15rocblas_eorder_iiiT0_iiPiS6_PT_lS6_lS6_liS6_S8_S8_S8_S8_S6_S7_.num_named_barrier, 0
	.set _ZN9rocsolver6v33100L22stebz_synthesis_kernelIfPfEEv15rocblas_erange_15rocblas_eorder_iiiT0_iiPiS6_PT_lS6_lS6_liS6_S8_S8_S8_S8_S6_S7_.private_seg_size, 0
	.set _ZN9rocsolver6v33100L22stebz_synthesis_kernelIfPfEEv15rocblas_erange_15rocblas_eorder_iiiT0_iiPiS6_PT_lS6_lS6_liS6_S8_S8_S8_S8_S6_S7_.uses_vcc, 1
	.set _ZN9rocsolver6v33100L22stebz_synthesis_kernelIfPfEEv15rocblas_erange_15rocblas_eorder_iiiT0_iiPiS6_PT_lS6_lS6_liS6_S8_S8_S8_S8_S6_S7_.uses_flat_scratch, 0
	.set _ZN9rocsolver6v33100L22stebz_synthesis_kernelIfPfEEv15rocblas_erange_15rocblas_eorder_iiiT0_iiPiS6_PT_lS6_lS6_liS6_S8_S8_S8_S8_S6_S7_.has_dyn_sized_stack, 0
	.set _ZN9rocsolver6v33100L22stebz_synthesis_kernelIfPfEEv15rocblas_erange_15rocblas_eorder_iiiT0_iiPiS6_PT_lS6_lS6_liS6_S8_S8_S8_S8_S6_S7_.has_recursion, 0
	.set _ZN9rocsolver6v33100L22stebz_synthesis_kernelIfPfEEv15rocblas_erange_15rocblas_eorder_iiiT0_iiPiS6_PT_lS6_lS6_liS6_S8_S8_S8_S8_S6_S7_.has_indirect_call, 0
	.section	.AMDGPU.csdata,"",@progbits
; Kernel info:
; codeLenInByte = 2772
; TotalNumSgprs: 44
; NumVgprs: 42
; ScratchSize: 0
; MemoryBound: 0
; FloatMode: 240
; IeeeMode: 1
; LDSByteSize: 0 bytes/workgroup (compile time only)
; SGPRBlocks: 5
; VGPRBlocks: 10
; NumSGPRsForWavesPerEU: 44
; NumVGPRsForWavesPerEU: 42
; Occupancy: 5
; WaveLimiterHint : 1
; COMPUTE_PGM_RSRC2:SCRATCH_EN: 0
; COMPUTE_PGM_RSRC2:USER_SGPR: 6
; COMPUTE_PGM_RSRC2:TRAP_HANDLER: 0
; COMPUTE_PGM_RSRC2:TGID_X_EN: 1
; COMPUTE_PGM_RSRC2:TGID_Y_EN: 0
; COMPUTE_PGM_RSRC2:TGID_Z_EN: 0
; COMPUTE_PGM_RSRC2:TIDIG_COMP_CNT: 0
	.section	.text._ZN9rocsolver6v33100L15bdsvdx_abs_eigsIfEEviPiPT_lS4_,"axG",@progbits,_ZN9rocsolver6v33100L15bdsvdx_abs_eigsIfEEviPiPT_lS4_,comdat
	.globl	_ZN9rocsolver6v33100L15bdsvdx_abs_eigsIfEEviPiPT_lS4_ ; -- Begin function _ZN9rocsolver6v33100L15bdsvdx_abs_eigsIfEEviPiPT_lS4_
	.p2align	8
	.type	_ZN9rocsolver6v33100L15bdsvdx_abs_eigsIfEEviPiPT_lS4_,@function
_ZN9rocsolver6v33100L15bdsvdx_abs_eigsIfEEviPiPT_lS4_: ; @_ZN9rocsolver6v33100L15bdsvdx_abs_eigsIfEEviPiPT_lS4_
; %bb.0:
	s_mov_b32 s0, s7
	s_load_dwordx8 s[8:15], s[4:5], 0x8
	s_load_dword s7, s[4:5], 0x0
	s_ashr_i32 s1, s0, 31
	s_lshl_b64 s[2:3], s[0:1], 2
	s_waitcnt lgkmcnt(0)
	s_add_u32 s2, s8, s2
	s_addc_u32 s3, s9, s3
	s_load_dword s9, s[2:3], 0x0
	s_load_dword s8, s[4:5], 0x34
	s_waitcnt lgkmcnt(0)
	s_cmp_le_i32 s9, s7
	s_cbranch_scc1 .LBB7_2
; %bb.1:
	v_mov_b32_e32 v1, 0
	v_mov_b32_e32 v2, s7
	s_mov_b32 s9, s7
	global_store_dword v1, v2, s[2:3]
.LBB7_2:
	s_and_b32 s2, 0xffff, s8
	s_mul_i32 s6, s6, s2
	v_add_u32_e32 v0, s6, v0
	v_cmp_gt_i32_e32 vcc, s9, v0
	s_and_saveexec_b64 s[2:3], vcc
	s_cbranch_execz .LBB7_4
; %bb.3:
	s_mul_i32 s1, s12, s1
	s_mul_hi_u32 s2, s12, s0
	s_add_i32 s1, s2, s1
	s_mul_i32 s2, s13, s0
	s_add_i32 s3, s1, s2
	s_mul_i32 s2, s12, s0
	s_lshl_b64 s[2:3], s[2:3], 2
	s_add_u32 s2, s10, s2
	s_mul_i32 s0, s0, s7
	s_addc_u32 s3, s11, s3
	s_lshl_b32 s0, s0, 1
	s_ashr_i32 s1, s0, 31
	s_lshl_b64 s[0:1], s[0:1], 2
	v_ashrrev_i32_e32 v1, 31, v0
	s_add_u32 s0, s14, s0
	v_lshlrev_b64 v[0:1], 2, v[0:1]
	s_addc_u32 s1, s15, s1
	v_mov_b32_e32 v3, s1
	v_add_co_u32_e32 v2, vcc, s0, v0
	v_addc_co_u32_e32 v3, vcc, v3, v1, vcc
	global_load_dword v2, v[2:3], off
	v_mov_b32_e32 v3, s3
	v_add_co_u32_e32 v0, vcc, s2, v0
	v_addc_co_u32_e32 v1, vcc, v3, v1, vcc
	s_waitcnt vmcnt(0)
	v_xor_b32_e32 v2, 0x80000000, v2
	global_store_dword v[0:1], v2, off
.LBB7_4:
	s_endpgm
	.section	.rodata,"a",@progbits
	.p2align	6, 0x0
	.amdhsa_kernel _ZN9rocsolver6v33100L15bdsvdx_abs_eigsIfEEviPiPT_lS4_
		.amdhsa_group_segment_fixed_size 0
		.amdhsa_private_segment_fixed_size 0
		.amdhsa_kernarg_size 296
		.amdhsa_user_sgpr_count 6
		.amdhsa_user_sgpr_private_segment_buffer 1
		.amdhsa_user_sgpr_dispatch_ptr 0
		.amdhsa_user_sgpr_queue_ptr 0
		.amdhsa_user_sgpr_kernarg_segment_ptr 1
		.amdhsa_user_sgpr_dispatch_id 0
		.amdhsa_user_sgpr_flat_scratch_init 0
		.amdhsa_user_sgpr_private_segment_size 0
		.amdhsa_uses_dynamic_stack 0
		.amdhsa_system_sgpr_private_segment_wavefront_offset 0
		.amdhsa_system_sgpr_workgroup_id_x 1
		.amdhsa_system_sgpr_workgroup_id_y 1
		.amdhsa_system_sgpr_workgroup_id_z 0
		.amdhsa_system_sgpr_workgroup_info 0
		.amdhsa_system_vgpr_workitem_id 0
		.amdhsa_next_free_vgpr 4
		.amdhsa_next_free_sgpr 16
		.amdhsa_reserve_vcc 1
		.amdhsa_reserve_flat_scratch 0
		.amdhsa_float_round_mode_32 0
		.amdhsa_float_round_mode_16_64 0
		.amdhsa_float_denorm_mode_32 3
		.amdhsa_float_denorm_mode_16_64 3
		.amdhsa_dx10_clamp 1
		.amdhsa_ieee_mode 1
		.amdhsa_fp16_overflow 0
		.amdhsa_exception_fp_ieee_invalid_op 0
		.amdhsa_exception_fp_denorm_src 0
		.amdhsa_exception_fp_ieee_div_zero 0
		.amdhsa_exception_fp_ieee_overflow 0
		.amdhsa_exception_fp_ieee_underflow 0
		.amdhsa_exception_fp_ieee_inexact 0
		.amdhsa_exception_int_div_zero 0
	.end_amdhsa_kernel
	.section	.text._ZN9rocsolver6v33100L15bdsvdx_abs_eigsIfEEviPiPT_lS4_,"axG",@progbits,_ZN9rocsolver6v33100L15bdsvdx_abs_eigsIfEEviPiPT_lS4_,comdat
.Lfunc_end7:
	.size	_ZN9rocsolver6v33100L15bdsvdx_abs_eigsIfEEviPiPT_lS4_, .Lfunc_end7-_ZN9rocsolver6v33100L15bdsvdx_abs_eigsIfEEviPiPT_lS4_
                                        ; -- End function
	.set _ZN9rocsolver6v33100L15bdsvdx_abs_eigsIfEEviPiPT_lS4_.num_vgpr, 4
	.set _ZN9rocsolver6v33100L15bdsvdx_abs_eigsIfEEviPiPT_lS4_.num_agpr, 0
	.set _ZN9rocsolver6v33100L15bdsvdx_abs_eigsIfEEviPiPT_lS4_.numbered_sgpr, 16
	.set _ZN9rocsolver6v33100L15bdsvdx_abs_eigsIfEEviPiPT_lS4_.num_named_barrier, 0
	.set _ZN9rocsolver6v33100L15bdsvdx_abs_eigsIfEEviPiPT_lS4_.private_seg_size, 0
	.set _ZN9rocsolver6v33100L15bdsvdx_abs_eigsIfEEviPiPT_lS4_.uses_vcc, 1
	.set _ZN9rocsolver6v33100L15bdsvdx_abs_eigsIfEEviPiPT_lS4_.uses_flat_scratch, 0
	.set _ZN9rocsolver6v33100L15bdsvdx_abs_eigsIfEEviPiPT_lS4_.has_dyn_sized_stack, 0
	.set _ZN9rocsolver6v33100L15bdsvdx_abs_eigsIfEEviPiPT_lS4_.has_recursion, 0
	.set _ZN9rocsolver6v33100L15bdsvdx_abs_eigsIfEEviPiPT_lS4_.has_indirect_call, 0
	.section	.AMDGPU.csdata,"",@progbits
; Kernel info:
; codeLenInByte = 244
; TotalNumSgprs: 20
; NumVgprs: 4
; ScratchSize: 0
; MemoryBound: 0
; FloatMode: 240
; IeeeMode: 1
; LDSByteSize: 0 bytes/workgroup (compile time only)
; SGPRBlocks: 2
; VGPRBlocks: 0
; NumSGPRsForWavesPerEU: 20
; NumVGPRsForWavesPerEU: 4
; Occupancy: 10
; WaveLimiterHint : 0
; COMPUTE_PGM_RSRC2:SCRATCH_EN: 0
; COMPUTE_PGM_RSRC2:USER_SGPR: 6
; COMPUTE_PGM_RSRC2:TRAP_HANDLER: 0
; COMPUTE_PGM_RSRC2:TGID_X_EN: 1
; COMPUTE_PGM_RSRC2:TGID_Y_EN: 1
; COMPUTE_PGM_RSRC2:TGID_Z_EN: 0
; COMPUTE_PGM_RSRC2:TIDIG_COMP_CNT: 0
	.section	.text._ZN9rocsolver6v33100L12stein_kernelIffPfEEviPT0_lS4_lPiS4_lS5_lS5_lT1_iilS5_lS5_S4_S5_S3_S3_,"axG",@progbits,_ZN9rocsolver6v33100L12stein_kernelIffPfEEviPT0_lS4_lPiS4_lS5_lS5_lT1_iilS5_lS5_S4_S5_S3_S3_,comdat
	.globl	_ZN9rocsolver6v33100L12stein_kernelIffPfEEviPT0_lS4_lPiS4_lS5_lS5_lT1_iilS5_lS5_S4_S5_S3_S3_ ; -- Begin function _ZN9rocsolver6v33100L12stein_kernelIffPfEEviPT0_lS4_lPiS4_lS5_lS5_lT1_iilS5_lS5_S4_S5_S3_S3_
	.p2align	8
	.type	_ZN9rocsolver6v33100L12stein_kernelIffPfEEviPT0_lS4_lPiS4_lS5_lS5_lT1_iilS5_lS5_S4_S5_S3_S3_,@function
_ZN9rocsolver6v33100L12stein_kernelIffPfEEviPT0_lS4_lPiS4_lS5_lS5_lT1_iilS5_lS5_S4_S5_S3_S3_: ; @_ZN9rocsolver6v33100L12stein_kernelIffPfEEviPT0_lS4_lPiS4_lS5_lS5_lT1_iilS5_lS5_S4_S5_S3_S3_
; %bb.0:
	s_load_dwordx16 s[8:23], s[4:5], 0x8
	s_mov_b32 s6, s7
	s_ashr_i32 s7, s7, 31
	s_lshl_b64 s[2:3], s[6:7], 2
	s_waitcnt lgkmcnt(0)
	s_add_u32 s0, s16, s2
	s_addc_u32 s1, s17, s3
	s_load_dword s48, s[0:1], 0x0
	s_waitcnt lgkmcnt(0)
	s_cmp_lt_i32 s48, 1
	s_cbranch_scc1 .LBB8_244
; %bb.1:
	s_load_dwordx8 s[24:31], s[4:5], 0x70
	s_load_dwordx4 s[44:47], s[4:5], 0x90
                                        ; implicit-def: $vgpr41 : SGPR spill to VGPR lane
	s_mov_b64 s[0:1], 0
	v_writelane_b32 v41, s2, 0
	v_writelane_b32 v41, s3, 1
	s_waitcnt lgkmcnt(0)
	s_cmp_eq_u64 s[26:27], 0
	v_writelane_b32 v41, s0, 2
	v_writelane_b32 v41, s1, 3
	s_cbranch_scc1 .LBB8_3
; %bb.2:
	s_mul_i32 s0, s28, s7
	s_mul_hi_u32 s1, s28, s6
	s_add_i32 s0, s1, s0
	s_mul_i32 s1, s29, s6
	s_add_i32 s1, s0, s1
	s_mul_i32 s0, s28, s6
	s_lshl_b64 s[0:1], s[0:1], 2
	s_add_u32 s0, s26, s0
	s_addc_u32 s1, s27, s1
	v_writelane_b32 v41, s0, 2
	v_writelane_b32 v41, s1, 3
.LBB8_3:
	v_cmp_eq_u32_e64 s[0:1], 0, v0
	s_and_saveexec_b64 s[2:3], s[0:1]
; %bb.4:
	v_mov_b32_e32 v1, 0
	ds_write_b32 v1, v1
; %bb.5:
	s_or_b64 exec, exec, s[2:3]
	v_readlane_b32 s2, v41, 2
	v_readlane_b32 s3, v41, 3
	s_cmp_lg_u64 s[2:3], 0
	s_cselect_b64 s[16:17], -1, 0
	v_cmp_gt_u32_e32 vcc, s48, v0
	s_mov_b64 s[26:27], 0
	s_and_b64 s[2:3], vcc, s[16:17]
	v_lshlrev_b32_e32 v5, 2, v0
	s_and_saveexec_b64 s[28:29], s[2:3]
	s_cbranch_execz .LBB8_8
; %bb.6:
	v_readlane_b32 s2, v41, 2
	v_readlane_b32 s3, v41, 3
	v_mov_b32_e32 v2, s3
	v_add_co_u32_e32 v1, vcc, s2, v5
	v_mov_b32_e32 v3, 0
	v_addc_co_u32_e32 v2, vcc, 0, v2, vcc
	v_mov_b32_e32 v4, v0
.LBB8_7:                                ; =>This Inner Loop Header: Depth=1
	v_add_u32_e32 v4, 0x100, v4
	global_store_dword v[1:2], v3, off
	v_add_co_u32_e32 v1, vcc, 0x400, v1
	v_cmp_le_i32_e64 s[2:3], s48, v4
	s_or_b64 s[26:27], s[2:3], s[26:27]
	v_addc_co_u32_e32 v2, vcc, 0, v2, vcc
	s_andn2_b64 exec, exec, s[26:27]
	s_cbranch_execnz .LBB8_7
.LBB8_8:
	v_writelane_b32 v41, s24, 4
	v_writelane_b32 v41, s25, 5
	;; [unrolled: 1-line block ×8, first 2 shown]
	s_or_b64 exec, exec, s[28:29]
	s_load_dwordx8 s[36:43], s[4:5], 0x48
	s_mov_b32 s27, 0
	s_mov_b32 s49, s27
	v_mov_b32_e32 v2, 0
	s_waitcnt lgkmcnt(0)
	s_mul_i32 s3, s36, s7
	s_mul_hi_u32 s24, s36, s6
	s_mul_i32 s25, s37, s6
	s_add_i32 s3, s24, s3
	s_mul_i32 s2, s36, s6
	s_add_i32 s3, s3, s25
	s_lshl_b64 s[2:3], s[2:3], 2
	s_add_u32 s33, s22, s2
	s_addc_u32 s34, s23, s3
	s_lshl_b64 s[2:3], s[48:49], 2
	s_add_u32 s2, s33, s2
	s_addc_u32 s3, s34, s3
	v_writelane_b32 v41, s2, 12
	v_writelane_b32 v41, s3, 13
	s_nop 3
	global_load_dword v1, v2, s[2:3] offset:-4
	s_waitcnt vmcnt(0)
	v_cmp_gt_i32_e32 vcc, 1, v1
	s_cbranch_vccnz .LBB8_242
; %bb.9:
	s_load_dword s28, s[4:5], 0x0
	s_mul_i32 s2, s10, s7
	s_mul_hi_u32 s3, s10, s6
	s_add_i32 s2, s3, s2
	s_mul_i32 s3, s11, s6
	s_add_i32 s3, s2, s3
	s_mul_i32 s2, s10, s6
	s_waitcnt lgkmcnt(0)
	s_ashr_i32 s29, s28, 31
	s_lshl_b64 s[2:3], s[2:3], 2
	s_add_u32 s26, s8, s2
	s_load_dwordx2 s[36:37], s[4:5], 0x68
	s_load_dwordx2 s[52:53], s[4:5], 0xa0
	s_addc_u32 s49, s9, s3
	s_mul_i32 s2, s14, s7
	s_mul_hi_u32 s3, s14, s6
	s_add_i32 s2, s3, s2
	s_mul_i32 s3, s15, s6
	s_add_i32 s3, s2, s3
	s_mul_i32 s2, s14, s6
	s_lshl_b64 s[2:3], s[2:3], 2
	s_add_u32 s82, s12, s2
	s_addc_u32 s23, s13, s3
	s_mul_i32 s2, s20, s7
	s_mul_hi_u32 s3, s20, s6
	s_waitcnt lgkmcnt(0)
	v_div_scale_f32 v3, s[8:9], s53, s53, 1.0
	s_add_i32 s2, s3, s2
	s_mul_i32 s3, s21, s6
	s_add_i32 s3, s2, s3
	s_mul_i32 s2, s20, s6
	s_lshl_b64 s[2:3], s[2:3], 2
	s_add_u32 s24, s18, s2
	s_addc_u32 s25, s19, s3
	s_mul_i32 s2, s40, s7
	s_mul_hi_u32 s3, s40, s6
	s_add_i32 s2, s3, s2
	s_mul_i32 s3, s41, s6
	v_div_scale_f32 v4, vcc, 1.0, s53, 1.0
	s_add_i32 s3, s2, s3
	s_mul_i32 s2, s40, s6
	s_lshl_b64 s[2:3], s[2:3], 2
	s_add_u32 s69, s38, s2
	s_mul_i32 s4, s28, 5
	s_addc_u32 s2, s39, s3
	v_writelane_b32 v41, s2, 14
	s_mul_hi_i32 s3, s4, s6
	s_mul_i32 s2, s4, s6
	s_lshl_b64 s[2:3], s[2:3], 2
	v_readlane_b32 s8, v41, 4
	s_add_u32 s18, s44, s2
	s_mul_hi_i32 s5, s28, s6
	s_mul_i32 s4, s28, s6
	v_readlane_b32 s9, v41, 5
	s_addc_u32 s19, s45, s3
	s_lshl_b64 s[4:5], s[4:5], 2
	s_mov_b64 s[40:41], s[8:9]
	s_add_u32 s20, s46, s4
	s_mul_i32 s7, s40, s7
	s_mul_hi_u32 s8, s40, s6
	s_addc_u32 s21, s47, s5
	s_add_i32 s7, s8, s7
	s_mul_i32 s8, s41, s6
	v_rcp_f32_e32 v6, v3
	s_add_i32 s7, s7, s8
	s_mul_i32 s6, s40, s6
	s_ashr_i32 s5, s36, 31
	s_lshl_b64 s[6:7], s[6:7], 2
	s_mov_b32 s4, s36
	s_add_u32 s6, s42, s6
	s_addc_u32 s7, s43, s7
	s_lshl_b64 s[4:5], s[4:5], 2
	v_fma_f32 v7, -v3, v6, 1.0
	s_add_u32 s36, s6, s4
	s_mul_i32 s6, s28, 3
	v_fmac_f32_e32 v6, v7, v6
	s_mov_b32 s4, s6
	v_mul_f32_e32 v7, v4, v6
	v_readlane_b32 s10, v41, 6
	v_readlane_b32 s11, v41, 7
	;; [unrolled: 1-line block ×6, first 2 shown]
	s_addc_u32 s58, s7, s5
	s_ashr_i32 s7, s6, 31
	v_writelane_b32 v41, s4, 15
	v_fma_f32 v8, -v3, v7, v4
	v_writelane_b32 v41, s5, 16
	s_lshl_b64 s[4:5], s[6:7], 2
	v_fmac_f32_e32 v7, v8, v6
	s_add_u32 s38, s18, s4
	v_fma_f32 v3, -v3, v7, v4
	v_div_fmas_f32 v3, v3, v6, v7
	s_addc_u32 s39, s19, s5
	s_lshl_b64 s[6:7], s[28:29], 3
	s_sub_u32 s59, 0, s6
	s_subb_u32 s22, 0, s7
	s_add_u32 s40, s38, s59
	s_addc_u32 s41, s39, s22
	s_lshl_b64 s[8:9], s[28:29], 2
	s_add_u32 s42, s40, s8
	s_addc_u32 s43, s41, s9
	s_add_u32 s46, s42, s6
	s_addc_u32 s47, s43, s7
	s_and_b64 s[54:55], s[0:1], s[16:17]
	s_add_u32 s7, s82, 4
	v_writelane_b32 v41, s7, 17
	v_writelane_b32 v41, s23, 18
	s_addc_u32 s7, s23, 0
	v_writelane_b32 v41, s7, 19
	s_add_u32 s7, s26, 4
	v_writelane_b32 v41, s7, 20
	s_addc_u32 s7, s49, 0
	s_add_u32 s2, s2, s4
	v_max_f32_e64 v4, s52, s52
	s_addc_u32 s3, s3, s5
	v_max_f32_e32 v21, 0, v4
	v_div_fixup_f32 v23, v3, s53, 1.0
	v_mov_b32_e32 v4, s19
	v_add_co_u32_e32 v3, vcc, s18, v5
	s_add_u32 s2, s44, s2
	v_add_u32_e32 v7, s28, v0
	v_addc_co_u32_e32 v4, vcc, 0, v4, vcc
	s_addc_u32 s3, s45, s3
	v_ashrrev_i32_e32 v8, 31, v7
	v_add_u32_e32 v22, 8, v5
	v_mov_b32_e32 v6, s3
	v_add_co_u32_e32 v5, vcc, s2, v5
	v_lshlrev_b64 v[7:8], 2, v[7:8]
	v_addc_co_u32_e32 v6, vcc, 0, v6, vcc
	s_lshl_b32 s29, s28, 1
	v_writelane_b32 v41, s7, 21
	v_mov_b32_e32 v9, s19
	v_add_co_u32_e32 v7, vcc, s18, v7
	s_add_u32 s44, s2, 8
	v_addc_co_u32_e32 v8, vcc, v9, v8, vcc
	s_addc_u32 s45, s3, 0
	v_writelane_b32 v41, s26, 22
	s_movk_i32 s6, 0x80
	v_add_co_u32_e32 v7, vcc, 4, v7
	s_add_u32 s56, s18, 4
	s_mov_b32 s60, 0xff800000
	v_writelane_b32 v41, s49, 23
	v_addc_co_u32_e32 v8, vcc, 0, v8, vcc
	s_addc_u32 s57, s19, 0
	v_mov_b32_e32 v24, 0x260
	v_mov_b32_e32 v25, 1.0
	s_mov_b32 s61, 0x41dfffff
	v_mov_b32_e32 v26, 1
	v_mov_b32_e32 v27, 8
	v_cmp_gt_u32_e64 s[2:3], s6, v0
	s_brev_b32 s23, -2
	s_mov_b32 s30, 0x41200000
	s_movk_i32 s31, 0x400
	s_mov_b32 s35, 0
	v_cmp_gt_u32_e64 s[4:5], 64, v0
	v_cmp_gt_i32_e64 s[6:7], s28, v0
	s_mov_b32 s62, s27
	v_writelane_b32 v41, s82, 24
                                        ; implicit-def: $vgpr28
                                        ; implicit-def: $vgpr30
                                        ; implicit-def: $vgpr31
                                        ; implicit-def: $vgpr29
                                        ; implicit-def: $sgpr65
	v_writelane_b32 v41, s69, 25
	s_branch .LBB8_12
.LBB8_10:                               ;   in Loop: Header=BB8_12 Depth=1
	v_readlane_b32 s8, v41, 12
	v_readlane_b32 s9, v41, 13
	s_mov_b32 s35, s16
	v_readlane_b32 s26, v41, 22
	v_readlane_b32 s49, v41, 23
	;; [unrolled: 1-line block ×4, first 2 shown]
	global_load_dword v1, v2, s[8:9] offset:-4
.LBB8_11:                               ;   in Loop: Header=BB8_12 Depth=1
	s_add_i32 s62, s62, 1
	s_waitcnt vmcnt(0)
	v_cmp_ge_i32_e32 vcc, s62, v1
	s_cbranch_vccnz .LBB8_242
.LBB8_12:                               ; =>This Loop Header: Depth=1
                                        ;     Child Loop BB8_17 Depth 2
                                        ;     Child Loop BB8_21 Depth 2
                                        ;       Child Loop BB8_31 Depth 3
                                        ;       Child Loop BB8_34 Depth 3
	;; [unrolled: 1-line block ×5, first 2 shown]
                                        ;         Child Loop BB8_103 Depth 4
                                        ;         Child Loop BB8_106 Depth 4
	;; [unrolled: 1-line block ×4, first 2 shown]
                                        ;           Child Loop BB8_122 Depth 5
                                        ;         Child Loop BB8_136 Depth 4
                                        ;           Child Loop BB8_137 Depth 5
                                        ;           Child Loop BB8_139 Depth 5
                                        ;         Child Loop BB8_144 Depth 4
                                        ;       Child Loop BB8_185 Depth 3
                                        ;       Child Loop BB8_222 Depth 3
	;; [unrolled: 1-line block ×4, first 2 shown]
	s_mov_b32 s64, 0
	s_cmp_eq_u32 s62, 0
	s_mov_b64 s[8:9], 0
	v_readlane_b32 s10, v41, 14
	s_cbranch_scc1 .LBB8_14
; %bb.13:                               ;   in Loop: Header=BB8_12 Depth=1
	s_mov_b32 s63, s27
	s_lshl_b64 s[8:9], s[62:63], 2
	s_add_u32 s8, s69, s8
	s_addc_u32 s9, s10, s9
	global_load_dword v9, v2, s[8:9] offset:-4
	s_mov_b64 s[8:9], s[62:63]
	s_waitcnt vmcnt(0)
	v_readfirstlane_b32 s64, v9
.LBB8_14:                               ;   in Loop: Header=BB8_12 Depth=1
	s_lshl_b64 s[8:9], s[8:9], 2
	s_add_u32 s8, s69, s8
	s_addc_u32 s9, s10, s9
	global_load_dword v9, v2, s[8:9]
	s_not_b32 s8, s64
	s_waitcnt vmcnt(0)
	v_readfirstlane_b32 s66, v9
	s_add_i32 s68, s8, s66
	s_sub_i32 s63, s66, s64
	s_cmp_lt_i32 s68, 1
	s_cselect_b64 s[70:71], -1, 0
	s_and_b64 vcc, exec, s[70:71]
	s_cbranch_vccnz .LBB8_19
; %bb.15:                               ;   in Loop: Header=BB8_12 Depth=1
	s_ashr_i32 s65, s64, 31
	s_lshl_b64 s[10:11], s[64:65], 2
	s_add_u32 s8, s26, s10
	s_addc_u32 s9, s49, s11
	s_add_u32 s14, s82, s10
	v_readlane_b32 s13, v41, 18
	s_addc_u32 s15, s13, s11
	s_ashr_i32 s67, s66, 31
	s_lshl_b64 s[16:17], s[66:67], 2
	s_add_u32 s50, s26, s16
	s_addc_u32 s51, s49, s17
	s_add_i32 s12, s66, -2
	s_add_u32 s16, s82, s16
	s_addc_u32 s17, s13, s17
	global_load_dword v10, v2, s[8:9]
	global_load_dword v9, v2, s[14:15]
	global_load_dword v11, v2, s[50:51] offset:-4
	global_load_dword v12, v2, s[16:17] offset:-8
	s_cmp_ge_i32 s64, s12
	s_waitcnt vmcnt(2)
	v_add_f32_e64 v10, |v10|, |v9|
	s_waitcnt vmcnt(0)
	v_add_f32_e64 v11, |v11|, |v12|
	v_cmp_lt_f32_e32 vcc, v10, v11
	v_cndmask_b32_e32 v29, v10, v11, vcc
	s_cbranch_scc1 .LBB8_18
; %bb.16:                               ;   in Loop: Header=BB8_12 Depth=1
	v_readlane_b32 s8, v41, 17
	s_add_u32 s8, s8, s10
	v_readlane_b32 s9, v41, 19
	s_addc_u32 s9, s9, s11
	v_readlane_b32 s13, v41, 20
	s_add_u32 s10, s13, s10
	v_readlane_b32 s13, v41, 21
	s_addc_u32 s11, s13, s11
	s_mov_b32 s13, s64
.LBB8_17:                               ;   Parent Loop BB8_12 Depth=1
                                        ; =>  This Inner Loop Header: Depth=2
	global_load_dword v10, v2, s[10:11]
	s_add_i32 s13, s13, 1
	s_waitcnt vmcnt(0)
	v_add_f32_e64 v10, |v9|, |v10|
	global_load_dword v9, v2, s[8:9]
	s_add_u32 s8, s8, 4
	s_addc_u32 s9, s9, 0
	s_add_u32 s10, s10, 4
	s_addc_u32 s11, s11, 0
	s_cmp_lt_i32 s13, s12
	s_waitcnt vmcnt(0)
	v_add_f32_e64 v10, v10, |v9|
	v_cmp_lt_f32_e32 vcc, v29, v10
	v_cndmask_b32_e32 v29, v29, v10, vcc
	s_cbranch_scc1 .LBB8_17
.LBB8_18:                               ;   in Loop: Header=BB8_12 Depth=1
	v_cvt_f64_u32_e32 v[9:10], s63
	s_mov_b32 s10, 0x9999999a
	s_mov_b32 s11, 0x3fb99999
	v_mul_f32_e32 v31, 0x3a83126f, v29
	v_div_scale_f64 v[11:12], s[8:9], v[9:10], v[9:10], s[10:11]
	s_mov_b32 s8, 0
	s_brev_b32 s9, 8
	s_mov_b32 s65, s35
	v_rcp_f64_e32 v[13:14], v[11:12]
	v_fma_f64 v[15:16], -v[11:12], v[13:14], 1.0
	v_fma_f64 v[13:14], v[13:14], v[15:16], v[13:14]
	v_div_scale_f64 v[15:16], vcc, s[10:11], v[9:10], s[10:11]
	v_fma_f64 v[17:18], -v[11:12], v[13:14], 1.0
	v_fma_f64 v[13:14], v[13:14], v[17:18], v[13:14]
	v_mul_f64 v[17:18], v[15:16], v[13:14]
	v_fma_f64 v[11:12], -v[11:12], v[17:18], v[15:16]
	v_div_fmas_f64 v[11:12], v[11:12], v[13:14], v[17:18]
	v_div_fixup_f64 v[9:10], v[11:12], v[9:10], s[10:11]
	v_cmp_gt_f64_e32 vcc, s[8:9], v[9:10]
	s_and_b64 s[8:9], vcc, exec
	s_cselect_b32 s8, 0x100, 0
	v_ldexp_f64 v[9:10], v[9:10], s8
	s_cselect_b32 s8, 0xffffff80, 0
	v_rsq_f64_e32 v[11:12], v[9:10]
	v_cmp_class_f64_e32 vcc, v[9:10], v24
	v_mul_f64 v[13:14], v[9:10], v[11:12]
	v_mul_f64 v[11:12], v[11:12], 0.5
	v_fma_f64 v[15:16], -v[11:12], v[13:14], 0.5
	v_fma_f64 v[13:14], v[13:14], v[15:16], v[13:14]
	v_fma_f64 v[11:12], v[11:12], v[15:16], v[11:12]
	v_fma_f64 v[15:16], -v[13:14], v[13:14], v[9:10]
	v_fma_f64 v[13:14], v[15:16], v[11:12], v[13:14]
	v_fma_f64 v[15:16], -v[13:14], v[13:14], v[9:10]
	v_fma_f64 v[11:12], v[15:16], v[11:12], v[13:14]
	v_ldexp_f64 v[11:12], v[11:12], s8
	v_cndmask_b32_e32 v10, v12, v10, vcc
	v_cndmask_b32_e32 v9, v11, v9, vcc
	v_cvt_f32_f64_e32 v30, v[9:10]
.LBB8_19:                               ;   in Loop: Header=BB8_12 Depth=1
	s_cmp_ge_i32 s35, s48
	s_cbranch_scc1 .LBB8_11
; %bb.20:                               ;   in Loop: Header=BB8_12 Depth=1
	s_ashr_i32 s67, s66, 31
	s_lshl_b64 s[12:13], s[66:67], 2
	s_add_u32 s72, s26, s12
	s_addc_u32 s73, s49, s13
	v_readlane_b32 s12, v41, 15
	v_readlane_b32 s13, v41, 16
	s_add_i32 s12, s68, s12
	s_ashr_i32 s13, s12, 31
	s_lshl_b64 s[12:13], s[12:13], 2
	s_add_u32 s74, s18, s12
	s_mov_b32 s69, s27
	v_cvt_f32_u32_e32 v1, s63
	v_add_u32_e32 v9, s64, v0
	s_addc_u32 s75, s19, s13
	s_lshl_b64 s[12:13], s[68:69], 2
	v_ashrrev_i32_e32 v10, 31, v9
	s_add_u32 s76, s20, s12
	v_lshlrev_b64 v[11:12], 2, v[9:10]
	s_addc_u32 s77, s21, s13
	s_add_i32 s67, s68, -1
	s_add_u32 s78, s38, s12
	v_mul_f32_e32 v32, v29, v1
	v_mov_b32_e32 v1, s49
	v_add_co_u32_e32 v9, vcc, s26, v11
	s_addc_u32 s79, s39, s13
	v_addc_co_u32_e32 v10, vcc, v1, v12, vcc
	v_readlane_b32 s14, v41, 18
	s_cmp_gt_u32 s63, 2
	v_mov_b32_e32 v1, s14
	v_add_co_u32_e32 v11, vcc, s82, v11
	v_cmp_ge_i32_e64 s[8:9], s68, v0
	v_cmp_gt_i32_e64 s[10:11], s68, v0
	s_cselect_b64 s[80:81], -1, 0
	v_cmp_gt_u32_e64 s[12:13], s63, v0
	v_addc_co_u32_e32 v12, vcc, v1, v12, vcc
	s_mov_b32 s49, 0
	s_sub_i32 s69, 0, s64
	s_mul_i32 s50, s37, s35
	v_mov_b32_e32 v1, v28
	s_mov_b32 s82, s35
.LBB8_21:                               ;   Parent Loop BB8_12 Depth=1
                                        ; =>  This Loop Header: Depth=2
                                        ;       Child Loop BB8_31 Depth 3
                                        ;       Child Loop BB8_34 Depth 3
	;; [unrolled: 1-line block ×5, first 2 shown]
                                        ;         Child Loop BB8_103 Depth 4
                                        ;         Child Loop BB8_106 Depth 4
	;; [unrolled: 1-line block ×4, first 2 shown]
                                        ;           Child Loop BB8_122 Depth 5
                                        ;         Child Loop BB8_136 Depth 4
                                        ;           Child Loop BB8_137 Depth 5
                                        ;           Child Loop BB8_139 Depth 5
                                        ;         Child Loop BB8_144 Depth 4
                                        ;       Child Loop BB8_185 Depth 3
                                        ;       Child Loop BB8_222 Depth 3
	;; [unrolled: 1-line block ×4, first 2 shown]
	s_ashr_i32 s83, s82, 31
	s_lshl_b64 s[16:17], s[82:83], 2
	s_add_u32 s14, s33, s16
	s_addc_u32 s15, s34, s17
	global_load_dword v13, v2, s[14:15]
	s_mov_b64 s[14:15], -1
	s_waitcnt vmcnt(0)
	v_add_u32_e32 v13, -1, v13
	v_cmp_ne_u32_e32 vcc, s62, v13
	s_cbranch_vccnz .LBB8_25
; %bb.22:                               ;   in Loop: Header=BB8_21 Depth=2
	s_add_u32 s14, s24, s16
	s_addc_u32 s15, s25, s17
	global_load_dword v28, v2, s[14:15]
	s_mov_b64 s[14:15], -1
	s_and_b64 vcc, exec, s[70:71]
	s_cbranch_vccnz .LBB8_26
; %bb.23:                               ;   in Loop: Header=BB8_21 Depth=2
	s_and_b64 vcc, exec, s[14:15]
	s_cbranch_vccnz .LBB8_29
.LBB8_24:                               ;   in Loop: Header=BB8_21 Depth=2
	s_and_saveexec_b64 s[16:17], s[6:7]
	s_cbranch_execnz .LBB8_236
	s_branch .LBB8_240
.LBB8_25:                               ;   in Loop: Header=BB8_21 Depth=2
	s_mov_b32 s16, s82
	v_mov_b32_e32 v28, v1
                                        ; implicit-def: $sgpr49
                                        ; implicit-def: $sgpr50
	s_and_b64 vcc, exec, s[14:15]
	s_cbranch_vccz .LBB8_241
	s_branch .LBB8_10
.LBB8_26:                               ;   in Loop: Header=BB8_21 Depth=2
	s_and_saveexec_b64 s[14:15], s[0:1]
	s_cbranch_execz .LBB8_28
; %bb.27:                               ;   in Loop: Header=BB8_21 Depth=2
	global_store_dword v2, v25, s[18:19]
.LBB8_28:                               ;   in Loop: Header=BB8_21 Depth=2
	s_or_b64 exec, exec, s[14:15]
	s_waitcnt vmcnt(0)
	s_barrier
	s_branch .LBB8_24
.LBB8_29:                               ;   in Loop: Header=BB8_21 Depth=2
	s_and_saveexec_b64 s[14:15], s[8:9]
	s_cbranch_execz .LBB8_32
; %bb.30:                               ;   in Loop: Header=BB8_21 Depth=2
	s_mul_i32 s16, s62, s48
	s_add_i32 s16, s82, s16
	v_lshl_or_b32 v13, s16, 8, v0
	v_add_u32_e32 v14, 1, v13
	s_mov_b32 s16, 0x40000001
	v_mul_hi_i32 v15, v14, s16
	v_sub_u32_e32 v16, 0x7ffffffe, v13
	v_sub_u32_e32 v17, 0xf7, v13
	s_mov_b32 s16, 0x7fffff07
	v_lshrrev_b32_e32 v18, 31, v15
	v_ashrrev_i32_e32 v15, 29, v15
	v_add_u32_e32 v15, v15, v18
	v_mul_lo_u32 v15, v15, s23
	v_max_u32_e32 v17, 1, v17
	v_cmp_gt_u32_e32 vcc, s16, v16
	s_mov_b32 s16, 0x7ffffffe
	v_cndmask_b32_e32 v16, v17, v16, vcc
	v_cmp_ne_u32_e32 vcc, s16, v13
	v_sub_u32_e32 v13, v14, v15
	v_max_i32_e32 v17, 1, v13
	v_mov_b32_e32 v14, v4
	v_cndmask_b32_e32 v16, 1, v16, vcc
	s_mov_b64 s[16:17], 0
	v_mov_b32_e32 v13, v3
	v_mov_b32_e32 v15, v0
.LBB8_31:                               ;   Parent Loop BB8_12 Depth=1
                                        ;     Parent Loop BB8_21 Depth=2
                                        ; =>    This Inner Loop Header: Depth=3
	s_mov_b32 s26, 0x5e4789c9
	s_mov_b32 s51, 0x4f7a09cd
	v_mul_hi_i32 v18, v17, s26
	v_mul_hi_i32 v19, v16, s51
	s_mov_b32 s83, 0xbc8f
	s_mov_b32 s84, 0x9ef4
	v_lshrrev_b32_e32 v20, 31, v18
	v_ashrrev_i32_e32 v18, 14, v18
	v_lshrrev_b32_e32 v33, 31, v19
	v_ashrrev_i32_e32 v19, 14, v19
	v_add_u32_e32 v18, v18, v20
	v_add_u32_e32 v19, v19, v33
	v_mul_i32_i24_e32 v20, 0xadc8, v18
	v_mul_i32_i24_e32 v33, 0xce26, v19
	v_sub_u32_e32 v17, v17, v20
	v_sub_u32_e32 v16, v16, v33
	v_mul_lo_u32 v17, v17, s83
	v_mul_lo_u32 v16, v16, s84
	s_movk_i32 s85, 0xf2b9
	s_movk_i32 s86, 0xf131
	v_mad_i32_i24 v17, v18, s85, v17
	v_mad_i32_i24 v16, v19, s86, v16
	v_ashrrev_i32_e32 v18, 31, v17
	v_ashrrev_i32_e32 v19, 31, v16
	v_and_b32_e32 v18, 0x7fffffff, v18
	v_and_b32_e32 v19, 0x7fffff07, v19
	v_add_u32_e32 v17, v18, v17
	v_add_u32_e32 v16, v19, v16
	v_sub_u32_e32 v18, v17, v16
	v_ashrrev_i32_e32 v19, 31, v18
	v_and_b32_e32 v19, 0x7fffffff, v19
	v_add_u32_e32 v18, v19, v18
	v_cvt_f64_i32_e32 v[18:19], v18
	v_add_u32_e32 v15, 0x100, v15
	v_div_scale_f64 v[33:34], s[84:85], s[60:61], s[60:61], v[18:19]
	v_rcp_f64_e32 v[35:36], v[33:34]
	v_fma_f64 v[37:38], -v[33:34], v[35:36], 1.0
	v_fma_f64 v[35:36], v[35:36], v[37:38], v[35:36]
	v_div_scale_f64 v[37:38], vcc, v[18:19], s[60:61], v[18:19]
	v_fma_f64 v[39:40], -v[33:34], v[35:36], 1.0
	v_fma_f64 v[35:36], v[35:36], v[39:40], v[35:36]
	v_mul_f64 v[39:40], v[37:38], v[35:36]
	v_fma_f64 v[33:34], -v[33:34], v[39:40], v[37:38]
	v_div_fmas_f64 v[33:34], v[33:34], v[35:36], v[39:40]
	v_cmp_lt_i32_e32 vcc, s68, v15
	s_or_b64 s[16:17], vcc, s[16:17]
	v_div_fixup_f64 v[18:19], v[33:34], s[60:61], v[18:19]
	v_cvt_f32_f64_e32 v18, v[18:19]
	global_store_dword v[13:14], v18, off
	v_add_co_u32_e32 v13, vcc, 0x400, v13
	v_addc_co_u32_e32 v14, vcc, 0, v14, vcc
	s_andn2_b64 exec, exec, s[16:17]
	s_cbranch_execnz .LBB8_31
.LBB8_32:                               ;   in Loop: Header=BB8_21 Depth=2
	s_or_b64 exec, exec, s[14:15]
	s_and_saveexec_b64 s[84:85], s[10:11]
	s_cbranch_execz .LBB8_35
; %bb.33:                               ;   in Loop: Header=BB8_21 Depth=2
	v_mov_b32_e32 v14, v12
	v_mov_b32_e32 v16, v10
	;; [unrolled: 1-line block ×4, first 2 shown]
	s_mov_b64 s[86:87], 0
	v_mov_b32_e32 v13, v11
	v_mov_b32_e32 v15, v9
	;; [unrolled: 1-line block ×5, first 2 shown]
.LBB8_34:                               ;   Parent Loop BB8_12 Depth=1
                                        ;     Parent Loop BB8_21 Depth=2
                                        ; =>    This Inner Loop Header: Depth=3
	global_load_dword v34, v[15:16], off
	v_mov_b32_e32 v37, s19
	s_waitcnt vmcnt(0)
	global_store_dword v[19:20], v34, off
	global_load_dword v36, v[13:14], off
	v_add_u32_e32 v34, s29, v33
	v_ashrrev_i32_e32 v35, 31, v34
	v_add_u32_e32 v33, 0x100, v33
	v_lshlrev_b64 v[34:35], 2, v[34:35]
	v_cmp_le_i32_e32 vcc, s68, v33
	s_or_b64 s[86:87], vcc, s[86:87]
	v_add_co_u32_e32 v34, vcc, s18, v34
	v_addc_co_u32_e32 v35, vcc, v37, v35, vcc
	v_add_co_u32_e32 v19, vcc, s31, v19
	v_addc_co_u32_e32 v20, vcc, 0, v20, vcc
	s_waitcnt vmcnt(0)
	global_store_dword v[34:35], v36, off
	global_store_dword v[17:18], v36, off
	v_add_co_u32_e32 v17, vcc, s31, v17
	s_mov_b64 s[14:15], vcc
	v_add_co_u32_e32 v15, vcc, 0x400, v15
	s_mov_b64 s[16:17], vcc
	v_addc_co_u32_e64 v18, vcc, 0, v18, s[14:15]
	v_add_co_u32_e32 v13, vcc, 0x400, v13
	v_addc_co_u32_e64 v16, s[14:15], 0, v16, s[16:17]
	v_addc_co_u32_e32 v14, vcc, 0, v14, vcc
	s_andn2_b64 exec, exec, s[86:87]
	s_cbranch_execnz .LBB8_34
.LBB8_35:                               ;   in Loop: Header=BB8_21 Depth=2
	s_or_b64 exec, exec, s[84:85]
	s_and_saveexec_b64 s[14:15], s[0:1]
	s_cbranch_execz .LBB8_37
; %bb.36:                               ;   in Loop: Header=BB8_21 Depth=2
	global_load_dword v13, v2, s[72:73] offset:-4
	s_waitcnt vmcnt(0)
	global_store_dword v2, v13, s[74:75]
.LBB8_37:                               ;   in Loop: Header=BB8_21 Depth=2
	s_or_b64 exec, exec, s[14:15]
	s_waitcnt vmcnt(0)
	v_mul_f32_e32 v13, s52, v28
	s_cmp_lg_u32 s49, 0
	v_mul_f32_e64 v14, |v13|, s30
	v_sub_f32_e32 v15, v28, v1
	s_cselect_b64 s[84:85], -1, 0
	s_cmp_eq_u32 s49, 0
	v_fma_f32 v13, |v13|, s30, v1
	v_cmp_lt_f32_e32 vcc, v15, v14
	v_cndmask_b32_e32 v13, v28, v13, vcc
	s_cselect_b64 vcc, -1, 0
	v_cndmask_b32_e32 v28, v13, v28, vcc
	s_barrier
	s_and_saveexec_b64 s[14:15], s[0:1]
	s_cbranch_execz .LBB8_64
; %bb.38:                               ;   in Loop: Header=BB8_21 Depth=2
	global_load_dword v13, v2, s[38:39]
	s_mov_b64 s[16:17], 0
	s_mov_b32 s26, 1
	global_store_dword v2, v2, s[76:77]
	s_waitcnt vmcnt(1)
	v_sub_f32_e32 v13, v13, v28
	global_store_dword v2, v13, s[38:39]
	global_load_dword v14, v2, s[40:41] offset:4
	s_waitcnt vmcnt(0)
	v_add_f32_e64 v13, |v13|, |v14|
	s_branch .LBB8_40
.LBB8_39:                               ;   in Loop: Header=BB8_40 Depth=3
	s_add_u32 s16, s16, 4
	s_addc_u32 s17, s17, 0
	s_add_i32 s26, s26, 1
	s_cmp_eq_u32 s63, s26
	s_cbranch_scc1 .LBB8_61
.LBB8_40:                               ;   Parent Loop BB8_12 Depth=1
                                        ;     Parent Loop BB8_21 Depth=2
                                        ; =>    This Inner Loop Header: Depth=3
	s_add_i32 s51, s26, -1
	s_add_u32 s90, s38, s16
	s_addc_u32 s91, s39, s17
	global_load_dword v14, v2, s[90:91] offset:4
	s_add_u32 s88, s42, s16
	s_addc_u32 s89, s43, s17
	s_cmp_lt_u32 s51, s67
	s_cselect_b64 s[86:87], -1, 0
	s_cmp_ge_u32 s51, s67
	s_waitcnt vmcnt(0)
	v_sub_f32_e32 v16, v14, v28
	global_store_dword v2, v16, s[90:91] offset:4
	global_load_dword v17, v2, s[88:89]
	s_waitcnt vmcnt(0)
	v_add_f32_e64 v14, |v16|, |v17|
	s_cbranch_scc1 .LBB8_42
; %bb.41:                               ;   in Loop: Header=BB8_40 Depth=3
	s_add_u32 s92, s40, s16
	s_addc_u32 s93, s41, s17
	global_load_dword v15, v2, s[92:93] offset:8
	s_waitcnt vmcnt(0)
	v_add_f32_e64 v14, v14, |v15|
.LBB8_42:                               ;   in Loop: Header=BB8_40 Depth=3
	global_load_dword v18, v2, s[90:91]
	s_waitcnt vmcnt(0)
	v_cmp_eq_f32_e32 vcc, 0, v18
	s_cbranch_vccnz .LBB8_53
; %bb.43:                               ;   in Loop: Header=BB8_40 Depth=3
	v_and_b32_e32 v15, 0x7fffffff, v18
	v_div_scale_f32 v19, s[92:93], v13, v13, v15
	v_div_scale_f32 v15, vcc, v15, v13, v15
	v_rcp_f32_e32 v20, v19
	v_fma_f32 v33, -v19, v20, 1.0
	v_fmac_f32_e32 v20, v33, v20
	v_mul_f32_e32 v33, v15, v20
	v_fma_f32 v34, -v19, v33, v15
	v_fmac_f32_e32 v33, v34, v20
	v_fma_f32 v15, -v19, v33, v15
	v_div_fmas_f32 v15, v15, v20, v33
	v_div_fixup_f32 v15, v15, v13, |v18|
	v_cmp_neq_f32_e32 vcc, 0, v17
	s_cbranch_vccz .LBB8_54
.LBB8_44:                               ;   in Loop: Header=BB8_40 Depth=3
	v_and_b32_e32 v19, 0x7fffffff, v17
	v_div_scale_f32 v20, s[92:93], v14, v14, v19
	v_div_scale_f32 v19, vcc, v19, v14, v19
	s_add_u32 s92, s20, s16
	s_addc_u32 s93, s21, s17
	s_mov_b64 s[94:95], -1
	v_rcp_f32_e32 v33, v20
	v_fma_f32 v34, -v20, v33, 1.0
	v_fmac_f32_e32 v33, v34, v33
	v_mul_f32_e32 v34, v19, v33
	v_fma_f32 v35, -v20, v34, v19
	v_fmac_f32_e32 v34, v35, v33
	v_fma_f32 v19, -v20, v34, v19
	v_div_fmas_f32 v19, v19, v33, v34
	v_div_fixup_f32 v19, v19, v14, |v17|
	v_cmp_nle_f32_e32 vcc, v19, v15
	s_cbranch_vccnz .LBB8_48
; %bb.45:                               ;   in Loop: Header=BB8_40 Depth=3
	v_div_scale_f32 v20, s[94:95], v18, v18, v17
	v_div_scale_f32 v33, vcc, v17, v18, v17
	s_add_u32 s94, s40, s16
	s_addc_u32 s95, s41, s17
	v_rcp_f32_e32 v34, v20
	v_fma_f32 v35, -v20, v34, 1.0
	v_fmac_f32_e32 v34, v35, v34
	v_mul_f32_e32 v35, v33, v34
	v_fma_f32 v36, -v20, v35, v33
	v_fmac_f32_e32 v35, v36, v34
	v_fma_f32 v20, -v20, v35, v33
	v_div_fmas_f32 v20, v20, v34, v35
	s_andn2_b64 vcc, exec, s[86:87]
	v_div_fixup_f32 v20, v20, v18, v17
	global_store_dword v2, v20, s[88:89]
	global_load_dword v33, v2, s[90:91] offset:4
	global_load_dword v34, v2, s[94:95] offset:4
	s_waitcnt vmcnt(0)
	v_fma_f32 v20, -v20, v34, v33
	global_store_dword v2, v2, s[92:93]
	global_store_dword v2, v20, s[90:91] offset:4
	s_cbranch_vccnz .LBB8_47
; %bb.46:                               ;   in Loop: Header=BB8_40 Depth=3
	s_add_u32 s94, s46, s16
	s_addc_u32 s95, s47, s17
	global_store_dword v2, v2, s[94:95]
.LBB8_47:                               ;   in Loop: Header=BB8_40 Depth=3
	s_mov_b64 s[94:95], 0
.LBB8_48:                               ;   in Loop: Header=BB8_40 Depth=3
	s_andn2_b64 vcc, exec, s[94:95]
	v_mov_b32_e32 v20, v14
	s_cbranch_vccnz .LBB8_52
; %bb.49:                               ;   in Loop: Header=BB8_40 Depth=3
	s_add_u32 s94, s40, s16
	global_store_dword v2, v17, s[90:91]
	s_addc_u32 s95, s41, s17
	global_load_dword v20, v2, s[94:95] offset:4
	v_div_scale_f32 v33, vcc, v17, v17, v18
	v_div_scale_f32 v34, vcc, v18, v17, v18
	global_store_dword v2, v26, s[92:93]
	v_rcp_f32_e32 v35, v33
	v_fma_f32 v36, -v33, v35, 1.0
	v_fmac_f32_e32 v35, v36, v35
	v_mul_f32_e32 v36, v34, v35
	v_fma_f32 v37, -v33, v36, v34
	v_fmac_f32_e32 v36, v37, v35
	v_fma_f32 v33, -v33, v36, v34
	v_div_fmas_f32 v33, v33, v35, v36
	s_andn2_b64 vcc, exec, s[86:87]
	v_div_fixup_f32 v17, v33, v17, v18
	s_waitcnt vmcnt(1)
	v_fma_f32 v18, -v16, v17, v20
	global_store_dword v2, v18, s[90:91] offset:4
	s_cbranch_vccnz .LBB8_51
; %bb.50:                               ;   in Loop: Header=BB8_40 Depth=3
	global_load_dword v18, v2, s[94:95] offset:8
	s_add_u32 s90, s46, s16
	s_addc_u32 s91, s47, s17
	s_waitcnt vmcnt(0)
	global_store_dword v2, v18, s[90:91]
	v_mul_f32_e64 v18, v18, -v17
	global_store_dword v2, v18, s[94:95] offset:8
.LBB8_51:                               ;   in Loop: Header=BB8_40 Depth=3
	v_mov_b32_e32 v20, v13
	global_store_dword v2, v16, s[94:95] offset:4
	global_store_dword v2, v17, s[88:89]
.LBB8_52:                               ;   in Loop: Header=BB8_40 Depth=3
	v_mov_b32_e32 v13, v20
	s_cbranch_execz .LBB8_55
	s_branch .LBB8_58
.LBB8_53:                               ;   in Loop: Header=BB8_40 Depth=3
	v_mov_b32_e32 v15, 0
	v_cmp_neq_f32_e32 vcc, 0, v17
	s_cbranch_vccnz .LBB8_44
.LBB8_54:                               ;   in Loop: Header=BB8_40 Depth=3
                                        ; implicit-def: $vgpr19
                                        ; implicit-def: $vgpr13
.LBB8_55:                               ;   in Loop: Header=BB8_40 Depth=3
	s_add_u32 s88, s20, s16
	s_addc_u32 s89, s21, s17
	s_andn2_b64 vcc, exec, s[86:87]
	global_store_dword v2, v2, s[88:89]
	s_cbranch_vccnz .LBB8_57
; %bb.56:                               ;   in Loop: Header=BB8_40 Depth=3
	s_add_u32 s86, s46, s16
	s_addc_u32 s87, s47, s17
	global_store_dword v2, v2, s[86:87]
.LBB8_57:                               ;   in Loop: Header=BB8_40 Depth=3
	v_mov_b32_e32 v19, 0
	v_mov_b32_e32 v13, v14
.LBB8_58:                               ;   in Loop: Header=BB8_40 Depth=3
	v_max_f32_e32 v14, v19, v19
	v_max_f32_e32 v15, v15, v15
	;; [unrolled: 1-line block ×3, first 2 shown]
	v_cmp_nle_f32_e32 vcc, v14, v21
	s_cbranch_vccnz .LBB8_39
; %bb.59:                               ;   in Loop: Header=BB8_40 Depth=3
	global_load_dword v14, v2, s[76:77]
	s_waitcnt vmcnt(0)
	v_cmp_ne_u32_e32 vcc, 0, v14
	s_cbranch_vccnz .LBB8_39
; %bb.60:                               ;   in Loop: Header=BB8_40 Depth=3
	v_mov_b32_e32 v14, s26
	global_store_dword v2, v14, s[76:77]
	s_branch .LBB8_39
.LBB8_61:                               ;   in Loop: Header=BB8_21 Depth=2
	global_load_dword v14, v2, s[78:79]
	v_mul_f32_e32 v13, v21, v13
	s_waitcnt vmcnt(0)
	v_cmp_le_f32_e64 s[16:17], |v14|, v13
	s_and_b64 vcc, exec, s[16:17]
	s_cbranch_vccz .LBB8_64
; %bb.62:                               ;   in Loop: Header=BB8_21 Depth=2
	global_load_dword v13, v2, s[76:77]
	s_waitcnt vmcnt(0)
	v_cmp_ne_u32_e32 vcc, 0, v13
	s_cbranch_vccnz .LBB8_64
; %bb.63:                               ;   in Loop: Header=BB8_21 Depth=2
	v_mov_b32_e32 v13, s63
	global_store_dword v2, v13, s[76:77]
.LBB8_64:                               ;   in Loop: Header=BB8_21 Depth=2
	s_or_b64 exec, exec, s[14:15]
	v_sub_f32_e32 v1, v28, v1
	v_cmp_gt_f32_e64 s[86:87], |v1|, v31
	s_mov_b32 s51, 0
	s_mov_b32 s83, 0
	v_mov_b32_e32 v1, 0
	v_bfrev_b32_e32 v15, -2
	s_and_saveexec_b64 s[88:89], s[8:9]
	s_cbranch_execz .LBB8_68
.LBB8_65:                               ;   in Loop: Header=BB8_21 Depth=2
	v_mov_b32_e32 v14, v4
	v_mov_b32_e32 v1, 0
	v_bfrev_b32_e32 v15, -2
	s_mov_b64 s[90:91], 0
	v_mov_b32_e32 v13, v3
	v_mov_b32_e32 v16, v0
.LBB8_66:                               ;   Parent Loop BB8_12 Depth=1
                                        ;     Parent Loop BB8_21 Depth=2
                                        ; =>    This Inner Loop Header: Depth=3
	global_load_dword v17, v[13:14], off
	v_add_co_u32_e32 v13, vcc, 0x400, v13
	v_cmp_eq_u32_e64 s[14:15], s23, v15
	v_add_u32_e32 v18, 1, v16
	v_add_u32_e32 v16, 0x100, v16
	v_addc_co_u32_e32 v14, vcc, 0, v14, vcc
	v_cmp_lt_i32_e64 s[16:17], s68, v16
	s_waitcnt vmcnt(0)
	v_cmp_lt_f32_e64 s[92:93], v1, |v17|
	s_or_b64 vcc, s[92:93], s[14:15]
	v_cndmask_b32_e64 v1, v1, |v17|, vcc
	s_or_b64 s[90:91], s[16:17], s[90:91]
	v_cndmask_b32_e32 v15, v15, v18, vcc
	s_andn2_b64 exec, exec, s[90:91]
	s_cbranch_execnz .LBB8_66
; %bb.67:                               ;   in Loop: Header=BB8_21 Depth=2
	s_or_b64 exec, exec, s[90:91]
.LBB8_68:                               ;   Parent Loop BB8_12 Depth=1
                                        ;     Parent Loop BB8_21 Depth=2
                                        ; =>    This Loop Header: Depth=3
                                        ;         Child Loop BB8_103 Depth 4
                                        ;         Child Loop BB8_106 Depth 4
	;; [unrolled: 1-line block ×4, first 2 shown]
                                        ;           Child Loop BB8_122 Depth 5
                                        ;         Child Loop BB8_136 Depth 4
                                        ;           Child Loop BB8_137 Depth 5
                                        ;           Child Loop BB8_139 Depth 5
                                        ;         Child Loop BB8_144 Depth 4
	s_or_b64 exec, exec, s[88:89]
	ds_write2st64_b32 v22, v1, v15 offset1:8
	s_waitcnt vmcnt(0) lgkmcnt(0)
	s_barrier
	s_and_saveexec_b64 s[16:17], s[2:3]
	s_cbranch_execz .LBB8_74
; %bb.69:                               ;   in Loop: Header=BB8_68 Depth=3
	ds_read2st64_b32 v[13:14], v22 offset0:2 offset1:10
	s_waitcnt lgkmcnt(0)
	v_cmp_lt_f32_e64 s[88:89], v1, v13
	v_cmp_nlt_f32_e32 vcc, v1, v13
	s_and_saveexec_b64 s[90:91], vcc
; %bb.70:                               ;   in Loop: Header=BB8_68 Depth=3
	v_cmp_eq_f32_e32 vcc, v1, v13
	v_cmp_gt_i32_e64 s[14:15], v15, v14
	s_and_b64 s[14:15], vcc, s[14:15]
	s_andn2_b64 s[88:89], s[88:89], exec
	s_and_b64 s[14:15], s[14:15], exec
	s_or_b64 s[88:89], s[88:89], s[14:15]
; %bb.71:                               ;   in Loop: Header=BB8_68 Depth=3
	s_or_b64 exec, exec, s[90:91]
	s_and_saveexec_b64 s[14:15], s[88:89]
; %bb.72:                               ;   in Loop: Header=BB8_68 Depth=3
	v_mov_b32_e32 v15, v14
	v_mov_b32_e32 v1, v13
	ds_write2st64_b32 v22, v13, v14 offset1:8
; %bb.73:                               ;   in Loop: Header=BB8_68 Depth=3
	s_or_b64 exec, exec, s[14:15]
.LBB8_74:                               ;   in Loop: Header=BB8_68 Depth=3
	s_or_b64 exec, exec, s[16:17]
	s_waitcnt lgkmcnt(0)
	s_barrier
	s_and_saveexec_b64 s[88:89], s[4:5]
	s_cbranch_execz .LBB8_101
; %bb.75:                               ;   in Loop: Header=BB8_68 Depth=3
	ds_read2st64_b32 v[13:14], v22 offset0:1 offset1:9
	s_waitcnt lgkmcnt(0)
	v_cmp_lt_f32_e64 s[16:17], v1, v13
	v_cmp_nlt_f32_e32 vcc, v1, v13
	s_and_saveexec_b64 s[90:91], vcc
; %bb.76:                               ;   in Loop: Header=BB8_68 Depth=3
	v_cmp_eq_f32_e32 vcc, v1, v13
	v_cmp_gt_i32_e64 s[14:15], v15, v14
	s_and_b64 s[14:15], vcc, s[14:15]
	s_andn2_b64 s[16:17], s[16:17], exec
	s_and_b64 s[14:15], s[14:15], exec
	s_or_b64 s[16:17], s[16:17], s[14:15]
; %bb.77:                               ;   in Loop: Header=BB8_68 Depth=3
	s_or_b64 exec, exec, s[90:91]
	s_and_saveexec_b64 s[14:15], s[16:17]
; %bb.78:                               ;   in Loop: Header=BB8_68 Depth=3
	v_mov_b32_e32 v1, v13
	v_mov_b32_e32 v15, v14
	ds_write2st64_b32 v22, v13, v14 offset1:8
; %bb.79:                               ;   in Loop: Header=BB8_68 Depth=3
	s_or_b64 exec, exec, s[14:15]
	v_add_u32_e32 v13, 0x80, v22
	ds_read2st64_b32 v[13:14], v13 offset1:8
	s_waitcnt lgkmcnt(0)
	v_cmp_lt_f32_e64 s[16:17], v1, v13
	v_cmp_nlt_f32_e32 vcc, v1, v13
	s_and_saveexec_b64 s[90:91], vcc
; %bb.80:                               ;   in Loop: Header=BB8_68 Depth=3
	v_cmp_eq_f32_e32 vcc, v1, v13
	v_cmp_gt_i32_e64 s[14:15], v15, v14
	s_and_b64 s[14:15], vcc, s[14:15]
	s_andn2_b64 s[16:17], s[16:17], exec
	s_and_b64 s[14:15], s[14:15], exec
	s_or_b64 s[16:17], s[16:17], s[14:15]
; %bb.81:                               ;   in Loop: Header=BB8_68 Depth=3
	s_or_b64 exec, exec, s[90:91]
	s_and_saveexec_b64 s[14:15], s[16:17]
; %bb.82:                               ;   in Loop: Header=BB8_68 Depth=3
	v_mov_b32_e32 v1, v13
	v_mov_b32_e32 v15, v14
	ds_write2st64_b32 v22, v13, v14 offset1:8
; %bb.83:                               ;   in Loop: Header=BB8_68 Depth=3
	s_or_b64 exec, exec, s[14:15]
	v_add_u32_e32 v13, 64, v22
	ds_read2st64_b32 v[13:14], v13 offset1:8
	;; [unrolled: 22-line block ×6, first 2 shown]
	s_waitcnt lgkmcnt(0)
	v_cmp_eq_f32_e64 s[14:15], v1, v13
	v_cmp_gt_i32_e64 s[16:17], v15, v14
	v_cmp_lt_f32_e32 vcc, v1, v13
	s_and_b64 s[14:15], s[14:15], s[16:17]
	s_or_b64 s[14:15], vcc, s[14:15]
	s_and_b64 exec, exec, s[14:15]
; %bb.100:                              ;   in Loop: Header=BB8_68 Depth=3
	ds_write2st64_b32 v22, v13, v14 offset1:8
.LBB8_101:                              ;   in Loop: Header=BB8_68 Depth=3
	s_or_b64 exec, exec, s[88:89]
	s_waitcnt lgkmcnt(0)
	s_barrier
	s_and_saveexec_b64 s[14:15], s[8:9]
	s_cbranch_execz .LBB8_104
; %bb.102:                              ;   in Loop: Header=BB8_68 Depth=3
	global_load_dword v1, v2, s[74:75]
	ds_read_b32 v15, v27
	v_mov_b32_e32 v13, s52
	s_waitcnt vmcnt(0)
	v_cmp_lt_f32_e64 s[16:17], s52, |v1|
	v_cndmask_b32_e64 v1, v13, |v1|, s[16:17]
	v_mul_f32_e32 v1, v32, v1
	s_waitcnt lgkmcnt(0)
	v_div_scale_f32 v13, s[16:17], v15, v15, v1
	v_div_scale_f32 v14, vcc, v1, v15, v1
	s_mov_b64 s[16:17], 0
	v_rcp_f32_e32 v16, v13
	v_fma_f32 v17, -v13, v16, 1.0
	v_fmac_f32_e32 v16, v17, v16
	v_mul_f32_e32 v17, v14, v16
	v_fma_f32 v18, -v13, v17, v14
	v_fmac_f32_e32 v17, v18, v16
	v_fma_f32 v13, -v13, v17, v14
	v_div_fmas_f32 v16, v13, v16, v17
	v_mov_b32_e32 v14, v4
	v_mov_b32_e32 v13, v3
	v_div_fixup_f32 v1, v16, v15, v1
	v_mov_b32_e32 v15, v0
.LBB8_103:                              ;   Parent Loop BB8_12 Depth=1
                                        ;     Parent Loop BB8_21 Depth=2
                                        ;       Parent Loop BB8_68 Depth=3
                                        ; =>      This Inner Loop Header: Depth=4
	global_load_dword v16, v[13:14], off
	v_add_u32_e32 v15, 0x100, v15
	v_cmp_lt_i32_e32 vcc, s68, v15
	s_or_b64 s[16:17], vcc, s[16:17]
	s_waitcnt vmcnt(0)
	v_mul_f32_e32 v16, v1, v16
	global_store_dword v[13:14], v16, off
	v_add_co_u32_e32 v13, vcc, 0x400, v13
	v_addc_co_u32_e32 v14, vcc, 0, v14, vcc
	s_andn2_b64 exec, exec, s[16:17]
	s_cbranch_execnz .LBB8_103
.LBB8_104:                              ;   in Loop: Header=BB8_68 Depth=3
	s_or_b64 exec, exec, s[14:15]
	s_waitcnt vmcnt(0)
	s_barrier
	s_and_saveexec_b64 s[16:17], s[0:1]
	s_cbranch_execz .LBB8_132
; %bb.105:                              ;   in Loop: Header=BB8_68 Depth=3
	global_load_dwordx2 v[13:14], v2, s[38:39]
	global_load_dword v1, v2, s[40:41] offset:4
	s_mov_b64 s[14:15], s[46:47]
	s_mov_b64 s[88:89], s[44:45]
	s_andn2_b64 vcc, exec, s[80:81]
	s_mov_b32 s26, s67
	s_waitcnt vmcnt(0)
	v_max3_f32 v1, |v13|, |v14|, |v1|
	s_cbranch_vccnz .LBB8_107
.LBB8_106:                              ;   Parent Loop BB8_12 Depth=1
                                        ;     Parent Loop BB8_21 Depth=2
                                        ;       Parent Loop BB8_68 Depth=3
                                        ; =>      This Inner Loop Header: Depth=4
	s_add_u32 s90, s88, s59
	s_addc_u32 s91, s89, s22
	global_load_dword v13, v2, s[14:15]
	global_load_dword v14, v2, s[88:89]
	global_load_dword v15, v2, s[90:91]
	s_add_i32 s26, s26, -1
	s_add_u32 s88, s88, 4
	s_addc_u32 s89, s89, 0
	s_add_u32 s14, s14, 4
	s_addc_u32 s15, s15, 0
	s_cmp_lg_u32 s26, 0
	s_waitcnt vmcnt(2)
	v_max_f32_e64 v13, |v13|, |v13|
	s_waitcnt vmcnt(0)
	v_max_f32_e64 v15, |v15|, |v15|
	v_max_f32_e32 v13, v15, v13
	v_max3_f32 v1, v1, |v14|, v13
	s_cbranch_scc1 .LBB8_106
.LBB8_107:                              ;   in Loop: Header=BB8_68 Depth=3
	s_mov_b32 s26, s68
	s_mov_b64 s[14:15], s[20:21]
	s_mov_b64 s[88:89], s[42:43]
	;; [unrolled: 1-line block ×3, first 2 shown]
	s_branch .LBB8_109
.LBB8_108:                              ;   in Loop: Header=BB8_109 Depth=4
	s_add_u32 s90, s90, 4
	s_addc_u32 s91, s91, 0
	s_add_u32 s88, s88, 4
	s_addc_u32 s89, s89, 0
	;; [unrolled: 2-line block ×3, first 2 shown]
	s_add_i32 s26, s26, -1
	s_cmp_lg_u32 s26, 0
	s_cbranch_scc0 .LBB8_113
.LBB8_109:                              ;   Parent Loop BB8_12 Depth=1
                                        ;     Parent Loop BB8_21 Depth=2
                                        ;       Parent Loop BB8_68 Depth=3
                                        ; =>      This Inner Loop Header: Depth=4
	global_load_dword v13, v2, s[14:15]
	s_waitcnt vmcnt(0)
	v_cmp_ne_u32_e32 vcc, 0, v13
	s_cbranch_vccz .LBB8_111
; %bb.110:                              ;   in Loop: Header=BB8_109 Depth=4
	global_load_dwordx2 v[13:14], v2, s[90:91] offset:-4
	s_waitcnt vmcnt(0)
	global_store_dword v2, v14, s[90:91] offset:-4
	global_load_dword v15, v2, s[88:89]
	s_waitcnt vmcnt(0)
	v_fma_f32 v13, -v14, v15, v13
	global_store_dword v2, v13, s[90:91]
	s_cbranch_execnz .LBB8_108
	s_branch .LBB8_112
.LBB8_111:                              ;   in Loop: Header=BB8_109 Depth=4
.LBB8_112:                              ;   in Loop: Header=BB8_109 Depth=4
	global_load_dwordx2 v[13:14], v2, s[90:91] offset:-4
	global_load_dword v15, v2, s[88:89]
	s_waitcnt vmcnt(0)
	v_fma_f32 v13, -v15, v13, v14
	global_store_dword v2, v13, s[90:91]
	s_branch .LBB8_108
.LBB8_113:                              ;   in Loop: Header=BB8_68 Depth=3
	v_mul_f32_e32 v1, s52, v1
	v_mov_b32_e32 v13, s52
	v_cmp_eq_f32_e32 vcc, 0, v1
	v_cndmask_b32_e32 v1, v1, v13, vcc
	v_and_b32_e32 v13, 0x7fffffff, v1
	s_mov_b32 s26, s68
	s_branch .LBB8_116
.LBB8_114:                              ;   in Loop: Header=BB8_116 Depth=4
	v_mov_b32_e32 v15, v19
.LBB8_115:                              ;   in Loop: Header=BB8_116 Depth=4
	v_div_scale_f32 v16, s[14:15], v15, v15, v14
	v_div_scale_f32 v17, vcc, v14, v15, v14
	s_add_i32 s14, s26, -1
	s_cmp_gt_i32 s26, 0
	s_mov_b32 s26, s14
	v_rcp_f32_e32 v18, v16
	v_fma_f32 v19, -v16, v18, 1.0
	v_fmac_f32_e32 v18, v19, v18
	v_mul_f32_e32 v19, v17, v18
	v_fma_f32 v20, -v16, v19, v17
	v_fmac_f32_e32 v19, v20, v18
	v_fma_f32 v16, -v16, v19, v17
	v_div_fmas_f32 v16, v16, v18, v19
	v_div_fixup_f32 v14, v16, v15, v14
	global_store_dword v2, v14, s[88:89]
	s_cbranch_scc0 .LBB8_132
.LBB8_116:                              ;   Parent Loop BB8_12 Depth=1
                                        ;     Parent Loop BB8_21 Depth=2
                                        ;       Parent Loop BB8_68 Depth=3
                                        ; =>      This Loop Header: Depth=4
                                        ;           Child Loop BB8_122 Depth 5
	s_lshl_b64 s[14:15], s[26:27], 2
	s_add_u32 s88, s18, s14
	s_addc_u32 s89, s19, s15
	global_load_dword v14, v2, s[88:89]
	s_cmp_ge_i32 s26, s68
	s_cbranch_scc1 .LBB8_118
; %bb.117:                              ;   in Loop: Header=BB8_116 Depth=4
	s_add_u32 s90, s40, s14
	s_addc_u32 s91, s41, s15
	global_load_dword v15, v2, s[90:91] offset:4
	global_load_dword v16, v2, s[88:89] offset:4
	s_waitcnt vmcnt(0)
	v_fma_f32 v14, -v15, v16, v14
.LBB8_118:                              ;   in Loop: Header=BB8_116 Depth=4
	s_cmp_ge_i32 s26, s67
	s_cbranch_scc1 .LBB8_120
; %bb.119:                              ;   in Loop: Header=BB8_116 Depth=4
	s_add_u32 s90, s46, s14
	s_addc_u32 s91, s47, s15
	global_load_dword v15, v2, s[90:91]
	global_load_dword v16, v2, s[88:89] offset:8
	s_waitcnt vmcnt(0)
	v_fma_f32 v14, -v15, v16, v14
.LBB8_120:                              ;   in Loop: Header=BB8_116 Depth=4
	s_add_u32 s14, s38, s14
	s_addc_u32 s15, s39, s15
	global_load_dword v15, v2, s[14:15]
	s_waitcnt vmcnt(0)
	v_cmp_nlt_f32_e64 s[14:15], |v15|, 1.0
	s_and_b64 vcc, exec, s[14:15]
	s_cbranch_vccnz .LBB8_115
; %bb.121:                              ;   in Loop: Header=BB8_116 Depth=4
	v_cmp_nle_f32_e32 vcc, 0, v15
	v_and_b32_e32 v18, 0x7fffffff, v15
	v_cndmask_b32_e64 v17, |v1|, -v13, vcc
	v_mul_f32_e64 v16, s53, |v14|
.LBB8_122:                              ;   Parent Loop BB8_12 Depth=1
                                        ;     Parent Loop BB8_21 Depth=2
                                        ;       Parent Loop BB8_68 Depth=3
                                        ;         Parent Loop BB8_116 Depth=4
                                        ; =>        This Inner Loop Header: Depth=5
	v_cmp_ngt_f32_e32 vcc, s53, v18
	s_mov_b64 s[14:15], -1
	s_mov_b64 s[90:91], 0
	s_mov_b64 s[92:93], -1
	s_cbranch_vccnz .LBB8_126
; %bb.123:                              ;   in Loop: Header=BB8_122 Depth=5
	s_andn2_b64 vcc, exec, s[92:93]
	s_cbranch_vccz .LBB8_127
.LBB8_124:                              ;   in Loop: Header=BB8_122 Depth=5
	s_andn2_b64 vcc, exec, s[90:91]
	s_cbranch_vccnz .LBB8_128
.LBB8_125:                              ;   in Loop: Header=BB8_122 Depth=5
	v_add_f32_e32 v19, v15, v17
	v_add_f32_e32 v17, v17, v17
	v_and_b32_e32 v18, 0x7fffffff, v19
	v_cmp_nlt_f32_e64 s[90:91], |v19|, 1.0
	s_mov_b64 s[14:15], -1
	s_andn2_b64 vcc, exec, s[90:91]
	s_cbranch_vccnz .LBB8_129
	s_branch .LBB8_130
.LBB8_126:                              ;   in Loop: Header=BB8_122 Depth=5
	v_mul_f32_e32 v19, v23, v18
	v_cmp_gt_f32_e64 s[90:91], |v14|, v19
	s_cbranch_execnz .LBB8_124
.LBB8_127:                              ;   in Loop: Header=BB8_122 Depth=5
	v_cmp_eq_f32_e32 vcc, 0, v15
	v_cmp_gt_f32_e64 s[14:15], v16, v18
	s_or_b64 s[90:91], vcc, s[14:15]
	s_mov_b64 s[14:15], 0
	s_andn2_b64 vcc, exec, s[90:91]
	s_cbranch_vccz .LBB8_125
.LBB8_128:                              ;   in Loop: Header=BB8_116 Depth=4
                                        ; implicit-def: $vgpr17
                                        ; implicit-def: $vgpr18
	v_mov_b32_e32 v19, v15
	s_branch .LBB8_130
.LBB8_129:                              ;   in Loop: Header=BB8_122 Depth=5
	v_mov_b32_e32 v15, v19
	s_branch .LBB8_122
.LBB8_130:                              ;   in Loop: Header=BB8_116 Depth=4
	s_andn2_b64 vcc, exec, s[14:15]
	s_cbranch_vccz .LBB8_114
; %bb.131:                              ;   in Loop: Header=BB8_116 Depth=4
	v_mul_f32_e32 v14, v23, v14
	v_mul_f32_e32 v19, v23, v15
	s_branch .LBB8_114
.LBB8_132:                              ;   in Loop: Header=BB8_68 Depth=3
	s_or_b64 exec, exec, s[16:17]
	s_andn2_b64 vcc, exec, s[84:85]
	s_waitcnt vmcnt(0)
	s_barrier
	s_cbranch_vccnz .LBB8_142
; %bb.133:                              ;   in Loop: Header=BB8_68 Depth=3
	s_and_b64 s[14:15], s[86:87], exec
	s_cselect_b32 s26, s82, s65
	s_cmp_eq_u32 s26, s82
	s_mov_b32 s65, s82
	s_cbranch_scc1 .LBB8_142
; %bb.134:                              ;   in Loop: Header=BB8_68 Depth=3
	s_cmp_lt_i32 s26, s82
	s_cselect_b64 s[14:15], -1, 0
	s_and_b64 s[16:17], s[0:1], s[14:15]
	s_and_saveexec_b64 s[14:15], s[16:17]
	s_cbranch_execz .LBB8_141
; %bb.135:                              ;   in Loop: Header=BB8_68 Depth=3
	s_mul_i32 s16, s37, s26
	s_add_i32 s65, s64, s16
	s_mov_b32 s90, s26
.LBB8_136:                              ;   Parent Loop BB8_12 Depth=1
                                        ;     Parent Loop BB8_21 Depth=2
                                        ;       Parent Loop BB8_68 Depth=3
                                        ; =>      This Loop Header: Depth=4
                                        ;           Child Loop BB8_137 Depth 5
                                        ;           Child Loop BB8_139 Depth 5
	v_mov_b32_e32 v1, 0
	s_mov_b64 s[16:17], s[18:19]
	s_mov_b32 s88, s65
	s_mov_b32 s91, s63
.LBB8_137:                              ;   Parent Loop BB8_12 Depth=1
                                        ;     Parent Loop BB8_21 Depth=2
                                        ;       Parent Loop BB8_68 Depth=3
                                        ;         Parent Loop BB8_136 Depth=4
                                        ; =>        This Inner Loop Header: Depth=5
	s_ashr_i32 s89, s88, 31
	s_lshl_b64 s[92:93], s[88:89], 2
	s_add_u32 s92, s36, s92
	s_addc_u32 s93, s58, s93
	global_load_dword v13, v2, s[16:17]
	global_load_dword v14, v2, s[92:93]
	s_add_i32 s91, s91, -1
	s_add_i32 s88, s88, 1
	s_add_u32 s16, s16, 4
	s_addc_u32 s17, s17, 0
	s_cmp_lg_u32 s91, 0
	s_waitcnt vmcnt(0)
	v_fmac_f32_e32 v1, v13, v14
	s_cbranch_scc1 .LBB8_137
; %bb.138:                              ;   in Loop: Header=BB8_136 Depth=4
	s_mov_b32 s88, 0
	s_mov_b64 s[16:17], s[18:19]
.LBB8_139:                              ;   Parent Loop BB8_12 Depth=1
                                        ;     Parent Loop BB8_21 Depth=2
                                        ;       Parent Loop BB8_68 Depth=3
                                        ;         Parent Loop BB8_136 Depth=4
                                        ; =>        This Inner Loop Header: Depth=5
	s_add_i32 s92, s65, s88
	s_ashr_i32 s93, s92, 31
	s_lshl_b64 s[92:93], s[92:93], 2
	s_add_u32 s92, s36, s92
	s_addc_u32 s93, s58, s93
	global_load_dword v13, v2, s[16:17]
	global_load_dword v14, v2, s[92:93]
	s_add_i32 s88, s88, 1
	s_waitcnt vmcnt(0)
	v_fma_f32 v13, -v1, v14, v13
	global_store_dword v2, v13, s[16:17]
	s_add_u32 s16, s16, 4
	s_addc_u32 s17, s17, 0
	s_cmp_lg_u32 s63, s88
	s_cbranch_scc1 .LBB8_139
; %bb.140:                              ;   in Loop: Header=BB8_136 Depth=4
	s_add_i32 s90, s90, 1
	s_add_i32 s65, s65, s37
	s_cmp_lt_i32 s90, s82
	s_cbranch_scc1 .LBB8_136
.LBB8_141:                              ;   in Loop: Header=BB8_68 Depth=3
	s_or_b64 exec, exec, s[14:15]
	s_mov_b32 s65, s26
	s_waitcnt vmcnt(0)
	s_barrier
.LBB8_142:                              ;   in Loop: Header=BB8_68 Depth=3
	v_mov_b32_e32 v1, 0
	v_bfrev_b32_e32 v15, -2
	s_and_saveexec_b64 s[88:89], s[8:9]
	s_cbranch_execz .LBB8_146
; %bb.143:                              ;   in Loop: Header=BB8_68 Depth=3
	v_mov_b32_e32 v14, v4
	v_mov_b32_e32 v1, 0
	v_bfrev_b32_e32 v15, -2
	s_mov_b64 s[90:91], 0
	v_mov_b32_e32 v13, v3
	v_mov_b32_e32 v16, v0
.LBB8_144:                              ;   Parent Loop BB8_12 Depth=1
                                        ;     Parent Loop BB8_21 Depth=2
                                        ;       Parent Loop BB8_68 Depth=3
                                        ; =>      This Inner Loop Header: Depth=4
	global_load_dword v17, v[13:14], off
	v_add_co_u32_e32 v13, vcc, 0x400, v13
	v_cmp_eq_u32_e64 s[14:15], s23, v15
	v_add_u32_e32 v18, 1, v16
	v_add_u32_e32 v16, 0x100, v16
	v_addc_co_u32_e32 v14, vcc, 0, v14, vcc
	v_cmp_lt_i32_e64 s[16:17], s68, v16
	s_waitcnt vmcnt(0)
	v_cmp_lt_f32_e64 s[92:93], v1, |v17|
	s_or_b64 vcc, s[92:93], s[14:15]
	v_cndmask_b32_e64 v1, v1, |v17|, vcc
	s_or_b64 s[90:91], s[16:17], s[90:91]
	v_cndmask_b32_e32 v15, v15, v18, vcc
	s_andn2_b64 exec, exec, s[90:91]
	s_cbranch_execnz .LBB8_144
; %bb.145:                              ;   in Loop: Header=BB8_68 Depth=3
	s_or_b64 exec, exec, s[90:91]
.LBB8_146:                              ;   in Loop: Header=BB8_68 Depth=3
	s_or_b64 exec, exec, s[88:89]
	ds_write2st64_b32 v22, v1, v15 offset1:8
	s_waitcnt lgkmcnt(0)
	s_barrier
	s_and_saveexec_b64 s[16:17], s[2:3]
	s_cbranch_execz .LBB8_152
; %bb.147:                              ;   in Loop: Header=BB8_68 Depth=3
	ds_read2st64_b32 v[13:14], v22 offset0:2 offset1:10
	s_waitcnt lgkmcnt(0)
	v_cmp_lt_f32_e64 s[88:89], v1, v13
	v_cmp_nlt_f32_e32 vcc, v1, v13
	s_and_saveexec_b64 s[90:91], vcc
; %bb.148:                              ;   in Loop: Header=BB8_68 Depth=3
	v_cmp_eq_f32_e32 vcc, v1, v13
	v_cmp_gt_i32_e64 s[14:15], v15, v14
	s_and_b64 s[14:15], vcc, s[14:15]
	s_andn2_b64 s[88:89], s[88:89], exec
	s_and_b64 s[14:15], s[14:15], exec
	s_or_b64 s[88:89], s[88:89], s[14:15]
; %bb.149:                              ;   in Loop: Header=BB8_68 Depth=3
	s_or_b64 exec, exec, s[90:91]
	s_and_saveexec_b64 s[14:15], s[88:89]
; %bb.150:                              ;   in Loop: Header=BB8_68 Depth=3
	v_mov_b32_e32 v15, v14
	v_mov_b32_e32 v1, v13
	ds_write2st64_b32 v22, v13, v14 offset1:8
; %bb.151:                              ;   in Loop: Header=BB8_68 Depth=3
	s_or_b64 exec, exec, s[14:15]
.LBB8_152:                              ;   in Loop: Header=BB8_68 Depth=3
	s_or_b64 exec, exec, s[16:17]
	s_waitcnt lgkmcnt(0)
	s_barrier
	s_and_saveexec_b64 s[88:89], s[4:5]
	s_cbranch_execz .LBB8_179
; %bb.153:                              ;   in Loop: Header=BB8_68 Depth=3
	ds_read2st64_b32 v[13:14], v22 offset0:1 offset1:9
	s_waitcnt lgkmcnt(0)
	v_cmp_lt_f32_e64 s[16:17], v1, v13
	v_cmp_nlt_f32_e32 vcc, v1, v13
	s_and_saveexec_b64 s[90:91], vcc
; %bb.154:                              ;   in Loop: Header=BB8_68 Depth=3
	v_cmp_eq_f32_e32 vcc, v1, v13
	v_cmp_gt_i32_e64 s[14:15], v15, v14
	s_and_b64 s[14:15], vcc, s[14:15]
	s_andn2_b64 s[16:17], s[16:17], exec
	s_and_b64 s[14:15], s[14:15], exec
	s_or_b64 s[16:17], s[16:17], s[14:15]
; %bb.155:                              ;   in Loop: Header=BB8_68 Depth=3
	s_or_b64 exec, exec, s[90:91]
	s_and_saveexec_b64 s[14:15], s[16:17]
; %bb.156:                              ;   in Loop: Header=BB8_68 Depth=3
	v_mov_b32_e32 v1, v13
	v_mov_b32_e32 v15, v14
	ds_write2st64_b32 v22, v13, v14 offset1:8
; %bb.157:                              ;   in Loop: Header=BB8_68 Depth=3
	s_or_b64 exec, exec, s[14:15]
	v_add_u32_e32 v13, 0x80, v22
	ds_read2st64_b32 v[13:14], v13 offset1:8
	s_waitcnt lgkmcnt(0)
	v_cmp_lt_f32_e64 s[16:17], v1, v13
	v_cmp_nlt_f32_e32 vcc, v1, v13
	s_and_saveexec_b64 s[90:91], vcc
; %bb.158:                              ;   in Loop: Header=BB8_68 Depth=3
	v_cmp_eq_f32_e32 vcc, v1, v13
	v_cmp_gt_i32_e64 s[14:15], v15, v14
	s_and_b64 s[14:15], vcc, s[14:15]
	s_andn2_b64 s[16:17], s[16:17], exec
	s_and_b64 s[14:15], s[14:15], exec
	s_or_b64 s[16:17], s[16:17], s[14:15]
; %bb.159:                              ;   in Loop: Header=BB8_68 Depth=3
	s_or_b64 exec, exec, s[90:91]
	s_and_saveexec_b64 s[14:15], s[16:17]
; %bb.160:                              ;   in Loop: Header=BB8_68 Depth=3
	v_mov_b32_e32 v1, v13
	v_mov_b32_e32 v15, v14
	ds_write2st64_b32 v22, v13, v14 offset1:8
; %bb.161:                              ;   in Loop: Header=BB8_68 Depth=3
	s_or_b64 exec, exec, s[14:15]
	v_add_u32_e32 v13, 64, v22
	ds_read2st64_b32 v[13:14], v13 offset1:8
	s_waitcnt lgkmcnt(0)
	v_cmp_lt_f32_e64 s[16:17], v1, v13
	v_cmp_nlt_f32_e32 vcc, v1, v13
	s_and_saveexec_b64 s[90:91], vcc
; %bb.162:                              ;   in Loop: Header=BB8_68 Depth=3
	v_cmp_eq_f32_e32 vcc, v1, v13
	v_cmp_gt_i32_e64 s[14:15], v15, v14
	s_and_b64 s[14:15], vcc, s[14:15]
	s_andn2_b64 s[16:17], s[16:17], exec
	s_and_b64 s[14:15], s[14:15], exec
	s_or_b64 s[16:17], s[16:17], s[14:15]
; %bb.163:                              ;   in Loop: Header=BB8_68 Depth=3
	s_or_b64 exec, exec, s[90:91]
	s_and_saveexec_b64 s[14:15], s[16:17]
; %bb.164:                              ;   in Loop: Header=BB8_68 Depth=3
	v_mov_b32_e32 v1, v13
	v_mov_b32_e32 v15, v14
	ds_write2st64_b32 v22, v13, v14 offset1:8
; %bb.165:                              ;   in Loop: Header=BB8_68 Depth=3
	s_or_b64 exec, exec, s[14:15]
	v_add_u32_e32 v13, 32, v22
	ds_read2st64_b32 v[13:14], v13 offset1:8
	s_waitcnt lgkmcnt(0)
	v_cmp_lt_f32_e64 s[16:17], v1, v13
	v_cmp_nlt_f32_e32 vcc, v1, v13
	s_and_saveexec_b64 s[90:91], vcc
; %bb.166:                              ;   in Loop: Header=BB8_68 Depth=3
	v_cmp_eq_f32_e32 vcc, v1, v13
	v_cmp_gt_i32_e64 s[14:15], v15, v14
	s_and_b64 s[14:15], vcc, s[14:15]
	s_andn2_b64 s[16:17], s[16:17], exec
	s_and_b64 s[14:15], s[14:15], exec
	s_or_b64 s[16:17], s[16:17], s[14:15]
; %bb.167:                              ;   in Loop: Header=BB8_68 Depth=3
	s_or_b64 exec, exec, s[90:91]
	s_and_saveexec_b64 s[14:15], s[16:17]
; %bb.168:                              ;   in Loop: Header=BB8_68 Depth=3
	v_mov_b32_e32 v1, v13
	v_mov_b32_e32 v15, v14
	ds_write2st64_b32 v22, v13, v14 offset1:8
; %bb.169:                              ;   in Loop: Header=BB8_68 Depth=3
	s_or_b64 exec, exec, s[14:15]
	v_add_u32_e32 v13, 16, v22
	ds_read2st64_b32 v[13:14], v13 offset1:8
	s_waitcnt lgkmcnt(0)
	v_cmp_lt_f32_e64 s[16:17], v1, v13
	v_cmp_nlt_f32_e32 vcc, v1, v13
	s_and_saveexec_b64 s[90:91], vcc
; %bb.170:                              ;   in Loop: Header=BB8_68 Depth=3
	v_cmp_eq_f32_e32 vcc, v1, v13
	v_cmp_gt_i32_e64 s[14:15], v15, v14
	s_and_b64 s[14:15], vcc, s[14:15]
	s_andn2_b64 s[16:17], s[16:17], exec
	s_and_b64 s[14:15], s[14:15], exec
	s_or_b64 s[16:17], s[16:17], s[14:15]
; %bb.171:                              ;   in Loop: Header=BB8_68 Depth=3
	s_or_b64 exec, exec, s[90:91]
	s_and_saveexec_b64 s[14:15], s[16:17]
; %bb.172:                              ;   in Loop: Header=BB8_68 Depth=3
	v_mov_b32_e32 v1, v13
	v_mov_b32_e32 v15, v14
	ds_write2st64_b32 v22, v13, v14 offset1:8
; %bb.173:                              ;   in Loop: Header=BB8_68 Depth=3
	s_or_b64 exec, exec, s[14:15]
	v_add_u32_e32 v13, 8, v22
	ds_read2st64_b32 v[13:14], v13 offset1:8
	s_waitcnt lgkmcnt(0)
	v_cmp_lt_f32_e64 s[16:17], v1, v13
	v_cmp_nlt_f32_e32 vcc, v1, v13
	s_and_saveexec_b64 s[90:91], vcc
; %bb.174:                              ;   in Loop: Header=BB8_68 Depth=3
	v_cmp_eq_f32_e32 vcc, v1, v13
	v_cmp_gt_i32_e64 s[14:15], v15, v14
	s_and_b64 s[14:15], vcc, s[14:15]
	s_andn2_b64 s[16:17], s[16:17], exec
	s_and_b64 s[14:15], s[14:15], exec
	s_or_b64 s[16:17], s[16:17], s[14:15]
; %bb.175:                              ;   in Loop: Header=BB8_68 Depth=3
	s_or_b64 exec, exec, s[90:91]
	s_and_saveexec_b64 s[14:15], s[16:17]
; %bb.176:                              ;   in Loop: Header=BB8_68 Depth=3
	v_mov_b32_e32 v1, v13
	v_mov_b32_e32 v15, v14
	ds_write2st64_b32 v22, v13, v14 offset1:8
; %bb.177:                              ;   in Loop: Header=BB8_68 Depth=3
	s_or_b64 exec, exec, s[14:15]
	v_add_u32_e32 v13, 4, v22
	ds_read2st64_b32 v[13:14], v13 offset1:8
	s_waitcnt lgkmcnt(0)
	v_cmp_eq_f32_e64 s[14:15], v1, v13
	v_cmp_gt_i32_e64 s[16:17], v15, v14
	v_cmp_lt_f32_e32 vcc, v1, v13
	s_and_b64 s[14:15], s[14:15], s[16:17]
	s_or_b64 s[14:15], vcc, s[14:15]
	s_and_b64 exec, exec, s[14:15]
; %bb.178:                              ;   in Loop: Header=BB8_68 Depth=3
	ds_write2st64_b32 v22, v13, v14 offset1:8
.LBB8_179:                              ;   in Loop: Header=BB8_68 Depth=3
	s_or_b64 exec, exec, s[88:89]
	s_waitcnt lgkmcnt(0)
	s_barrier
	ds_read_b32 v1, v27
	s_add_i32 s16, s83, 1
	s_waitcnt lgkmcnt(0)
	v_cmp_ge_f32_e32 vcc, v1, v30
	v_cndmask_b32_e64 v1, 0, 1, vcc
	v_readfirstlane_b32 s14, v1
	s_add_i32 s51, s51, s14
	s_cmp_lt_u32 s83, 4
	s_cselect_b64 s[88:89], -1, 0
	s_cmp_lt_u32 s51, 2
	s_cselect_b64 s[14:15], -1, 0
	s_and_b64 s[88:89], s[88:89], s[14:15]
	s_and_b64 vcc, exec, s[88:89]
	s_cbranch_vccz .LBB8_181
; %bb.180:                              ;   in Loop: Header=BB8_68 Depth=3
	s_mov_b32 s83, s16
	v_mov_b32_e32 v1, 0
	v_bfrev_b32_e32 v15, -2
	s_and_saveexec_b64 s[88:89], s[8:9]
	s_cbranch_execnz .LBB8_65
	s_branch .LBB8_68
.LBB8_181:                              ;   in Loop: Header=BB8_21 Depth=2
	s_and_b64 s[16:17], s[54:55], s[14:15]
	s_and_saveexec_b64 s[14:15], s[16:17]
	s_cbranch_execz .LBB8_183
; %bb.182:                              ;   in Loop: Header=BB8_21 Depth=2
	ds_read_b32 v13, v2
	v_readlane_b32 s84, v41, 2
	v_readlane_b32 s85, v41, 3
	s_add_i32 s16, s82, 1
	v_mov_b32_e32 v1, s85
	s_waitcnt lgkmcnt(0)
	v_ashrrev_i32_e32 v14, 31, v13
	v_lshlrev_b64 v[14:15], 2, v[13:14]
	v_mov_b32_e32 v16, s16
	v_add_co_u32_e32 v14, vcc, s84, v14
	v_addc_co_u32_e32 v15, vcc, v1, v15, vcc
	v_add_u32_e32 v1, 1, v13
	global_store_dword v[14:15], v16, off
	ds_write_b32 v2, v1
.LBB8_183:                              ;   in Loop: Header=BB8_21 Depth=2
	s_or_b64 exec, exec, s[14:15]
	v_mov_b32_e32 v1, 0
	v_bfrev_b32_e32 v15, -2
	s_and_saveexec_b64 s[84:85], s[8:9]
	s_cbranch_execz .LBB8_187
; %bb.184:                              ;   in Loop: Header=BB8_21 Depth=2
	v_mov_b32_e32 v14, v4
	v_mov_b32_e32 v1, 0
	v_bfrev_b32_e32 v15, -2
	s_mov_b64 s[86:87], 0
	v_mov_b32_e32 v13, v3
	v_mov_b32_e32 v16, v0
.LBB8_185:                              ;   Parent Loop BB8_12 Depth=1
                                        ;     Parent Loop BB8_21 Depth=2
                                        ; =>    This Inner Loop Header: Depth=3
	global_load_dword v17, v[13:14], off
	v_add_co_u32_e32 v13, vcc, 0x400, v13
	v_cmp_eq_u32_e64 s[14:15], s23, v15
	v_add_u32_e32 v18, 1, v16
	v_add_u32_e32 v16, 0x100, v16
	v_addc_co_u32_e32 v14, vcc, 0, v14, vcc
	v_cmp_lt_i32_e64 s[16:17], s68, v16
	s_waitcnt vmcnt(0)
	v_cmp_lt_f32_e64 s[88:89], v1, |v17|
	s_or_b64 vcc, s[88:89], s[14:15]
	v_cndmask_b32_e64 v1, v1, |v17|, vcc
	s_or_b64 s[86:87], s[16:17], s[86:87]
	v_cndmask_b32_e32 v15, v15, v18, vcc
	s_andn2_b64 exec, exec, s[86:87]
	s_cbranch_execnz .LBB8_185
; %bb.186:                              ;   in Loop: Header=BB8_21 Depth=2
	s_or_b64 exec, exec, s[86:87]
.LBB8_187:                              ;   in Loop: Header=BB8_21 Depth=2
	s_or_b64 exec, exec, s[84:85]
	ds_write2st64_b32 v22, v1, v15 offset1:8
	s_waitcnt vmcnt(0) lgkmcnt(0)
	s_barrier
	s_and_saveexec_b64 s[16:17], s[2:3]
	s_cbranch_execz .LBB8_193
; %bb.188:                              ;   in Loop: Header=BB8_21 Depth=2
	ds_read2st64_b32 v[13:14], v22 offset0:2 offset1:10
	s_waitcnt lgkmcnt(0)
	v_cmp_lt_f32_e64 s[84:85], v1, v13
	v_cmp_nlt_f32_e32 vcc, v1, v13
	s_and_saveexec_b64 s[86:87], vcc
; %bb.189:                              ;   in Loop: Header=BB8_21 Depth=2
	v_cmp_eq_f32_e32 vcc, v1, v13
	v_cmp_gt_i32_e64 s[14:15], v15, v14
	s_and_b64 s[14:15], vcc, s[14:15]
	s_andn2_b64 s[84:85], s[84:85], exec
	s_and_b64 s[14:15], s[14:15], exec
	s_or_b64 s[84:85], s[84:85], s[14:15]
; %bb.190:                              ;   in Loop: Header=BB8_21 Depth=2
	s_or_b64 exec, exec, s[86:87]
	s_and_saveexec_b64 s[14:15], s[84:85]
; %bb.191:                              ;   in Loop: Header=BB8_21 Depth=2
	v_mov_b32_e32 v15, v14
	v_mov_b32_e32 v1, v13
	ds_write2st64_b32 v22, v13, v14 offset1:8
; %bb.192:                              ;   in Loop: Header=BB8_21 Depth=2
	s_or_b64 exec, exec, s[14:15]
.LBB8_193:                              ;   in Loop: Header=BB8_21 Depth=2
	s_or_b64 exec, exec, s[16:17]
	s_waitcnt lgkmcnt(0)
	s_barrier
	s_and_saveexec_b64 s[84:85], s[4:5]
	s_cbranch_execz .LBB8_220
; %bb.194:                              ;   in Loop: Header=BB8_21 Depth=2
	ds_read2st64_b32 v[13:14], v22 offset0:1 offset1:9
	s_waitcnt lgkmcnt(0)
	v_cmp_lt_f32_e64 s[16:17], v1, v13
	v_cmp_nlt_f32_e32 vcc, v1, v13
	s_and_saveexec_b64 s[86:87], vcc
; %bb.195:                              ;   in Loop: Header=BB8_21 Depth=2
	v_cmp_eq_f32_e32 vcc, v1, v13
	v_cmp_gt_i32_e64 s[14:15], v15, v14
	s_and_b64 s[14:15], vcc, s[14:15]
	s_andn2_b64 s[16:17], s[16:17], exec
	s_and_b64 s[14:15], s[14:15], exec
	s_or_b64 s[16:17], s[16:17], s[14:15]
; %bb.196:                              ;   in Loop: Header=BB8_21 Depth=2
	s_or_b64 exec, exec, s[86:87]
	s_and_saveexec_b64 s[14:15], s[16:17]
; %bb.197:                              ;   in Loop: Header=BB8_21 Depth=2
	v_mov_b32_e32 v1, v13
	v_mov_b32_e32 v15, v14
	ds_write2st64_b32 v22, v13, v14 offset1:8
; %bb.198:                              ;   in Loop: Header=BB8_21 Depth=2
	s_or_b64 exec, exec, s[14:15]
	v_add_u32_e32 v13, 0x80, v22
	ds_read2st64_b32 v[13:14], v13 offset1:8
	s_waitcnt lgkmcnt(0)
	v_cmp_lt_f32_e64 s[16:17], v1, v13
	v_cmp_nlt_f32_e32 vcc, v1, v13
	s_and_saveexec_b64 s[86:87], vcc
; %bb.199:                              ;   in Loop: Header=BB8_21 Depth=2
	v_cmp_eq_f32_e32 vcc, v1, v13
	v_cmp_gt_i32_e64 s[14:15], v15, v14
	s_and_b64 s[14:15], vcc, s[14:15]
	s_andn2_b64 s[16:17], s[16:17], exec
	s_and_b64 s[14:15], s[14:15], exec
	s_or_b64 s[16:17], s[16:17], s[14:15]
; %bb.200:                              ;   in Loop: Header=BB8_21 Depth=2
	s_or_b64 exec, exec, s[86:87]
	s_and_saveexec_b64 s[14:15], s[16:17]
; %bb.201:                              ;   in Loop: Header=BB8_21 Depth=2
	v_mov_b32_e32 v1, v13
	v_mov_b32_e32 v15, v14
	ds_write2st64_b32 v22, v13, v14 offset1:8
; %bb.202:                              ;   in Loop: Header=BB8_21 Depth=2
	s_or_b64 exec, exec, s[14:15]
	v_add_u32_e32 v13, 64, v22
	ds_read2st64_b32 v[13:14], v13 offset1:8
	;; [unrolled: 22-line block ×6, first 2 shown]
	s_waitcnt lgkmcnt(0)
	v_cmp_eq_f32_e64 s[14:15], v1, v13
	v_cmp_gt_i32_e64 s[16:17], v15, v14
	v_cmp_lt_f32_e32 vcc, v1, v13
	s_and_b64 s[14:15], s[14:15], s[16:17]
	s_or_b64 s[14:15], vcc, s[14:15]
	s_and_b64 exec, exec, s[14:15]
; %bb.219:                              ;   in Loop: Header=BB8_21 Depth=2
	ds_write2st64_b32 v22, v13, v14 offset1:8
.LBB8_220:                              ;   in Loop: Header=BB8_21 Depth=2
	s_or_b64 exec, exec, s[84:85]
	v_mov_b32_e32 v1, 0
	s_and_saveexec_b64 s[16:17], s[12:13]
	s_cbranch_execz .LBB8_224
; %bb.221:                              ;   in Loop: Header=BB8_21 Depth=2
	v_mov_b32_e32 v14, v4
	v_mov_b32_e32 v1, 0
	s_mov_b64 s[84:85], 0
	v_mov_b32_e32 v13, v3
	v_mov_b32_e32 v15, v0
.LBB8_222:                              ;   Parent Loop BB8_12 Depth=1
                                        ;     Parent Loop BB8_21 Depth=2
                                        ; =>    This Inner Loop Header: Depth=3
	global_load_dword v16, v[13:14], off
	v_add_u32_e32 v15, 0x100, v15
	v_add_co_u32_e32 v13, vcc, 0x400, v13
	v_cmp_le_u32_e64 s[14:15], s63, v15
	v_addc_co_u32_e32 v14, vcc, 0, v14, vcc
	s_or_b64 s[84:85], s[14:15], s[84:85]
	s_waitcnt vmcnt(0)
	v_fmac_f32_e32 v1, v16, v16
	s_andn2_b64 exec, exec, s[84:85]
	s_cbranch_execnz .LBB8_222
; %bb.223:                              ;   in Loop: Header=BB8_21 Depth=2
	s_or_b64 exec, exec, s[84:85]
.LBB8_224:                              ;   in Loop: Header=BB8_21 Depth=2
	s_or_b64 exec, exec, s[16:17]
	ds_write_b32 v22, v1 offset:1024
	s_waitcnt lgkmcnt(0)
	s_barrier
	s_and_saveexec_b64 s[14:15], s[2:3]
	s_cbranch_execz .LBB8_226
; %bb.225:                              ;   in Loop: Header=BB8_21 Depth=2
	ds_read_b32 v13, v22 offset:1536
	s_waitcnt lgkmcnt(0)
	v_add_f32_e32 v1, v1, v13
.LBB8_226:                              ;   in Loop: Header=BB8_21 Depth=2
	s_or_b64 exec, exec, s[14:15]
	s_barrier
	s_and_saveexec_b64 s[14:15], s[2:3]
; %bb.227:                              ;   in Loop: Header=BB8_21 Depth=2
	ds_write_b32 v22, v1 offset:1024
; %bb.228:                              ;   in Loop: Header=BB8_21 Depth=2
	s_or_b64 exec, exec, s[14:15]
	s_waitcnt lgkmcnt(0)
	s_barrier
	s_and_saveexec_b64 s[14:15], s[4:5]
	s_cbranch_execz .LBB8_230
; %bb.229:                              ;   in Loop: Header=BB8_21 Depth=2
	ds_read2st64_b32 v[13:14], v22 offset0:4 offset1:5
	v_add_u32_e32 v1, 0x400, v22
	s_waitcnt lgkmcnt(0)
	v_add_f32_e32 v13, v13, v14
	ds_write_b32 v22, v13 offset:1024
	s_waitcnt lgkmcnt(0)
	buffer_wbinvl1_vol
	ds_read2_b32 v[13:14], v1 offset1:32
	s_waitcnt lgkmcnt(0)
	v_add_f32_e32 v13, v13, v14
	ds_write_b32 v22, v13 offset:1024
	s_waitcnt lgkmcnt(0)
	buffer_wbinvl1_vol
	ds_read2_b32 v[13:14], v1 offset1:16
	s_waitcnt lgkmcnt(0)
	v_add_f32_e32 v13, v13, v14
	ds_write_b32 v22, v13 offset:1024
	s_waitcnt lgkmcnt(0)
	buffer_wbinvl1_vol
	ds_read2_b32 v[13:14], v1 offset1:8
	s_waitcnt lgkmcnt(0)
	v_add_f32_e32 v13, v13, v14
	ds_write_b32 v22, v13 offset:1024
	s_waitcnt lgkmcnt(0)
	buffer_wbinvl1_vol
	ds_read2_b32 v[13:14], v1 offset1:4
	s_waitcnt lgkmcnt(0)
	v_add_f32_e32 v13, v13, v14
	ds_write_b32 v22, v13 offset:1024
	s_waitcnt lgkmcnt(0)
	buffer_wbinvl1_vol
	ds_read2_b32 v[13:14], v1 offset1:2
	s_waitcnt lgkmcnt(0)
	v_add_f32_e32 v13, v13, v14
	ds_write_b32 v22, v13 offset:1024
	s_waitcnt lgkmcnt(0)
	buffer_wbinvl1_vol
	ds_read2_b32 v[13:14], v1 offset1:1
	s_waitcnt lgkmcnt(0)
	v_add_f32_e32 v1, v13, v14
	ds_write_b32 v22, v1 offset:1024
	s_waitcnt lgkmcnt(0)
	buffer_wbinvl1_vol
.LBB8_230:                              ;   in Loop: Header=BB8_21 Depth=2
	s_or_b64 exec, exec, s[14:15]
	s_and_saveexec_b64 s[16:17], s[0:1]
	s_cbranch_execz .LBB8_232
; %bb.231:                              ;   in Loop: Header=BB8_21 Depth=2
	ds_read_b32 v1, v27 offset:1024
	s_mov_b32 s14, 0xf800000
	s_waitcnt lgkmcnt(0)
	v_mul_f32_e32 v13, 0x4f800000, v1
	v_cmp_gt_f32_e32 vcc, s14, v1
	v_cndmask_b32_e32 v1, v1, v13, vcc
	v_sqrt_f32_e32 v13, v1
	v_add_u32_e32 v14, -1, v13
	v_add_u32_e32 v15, 1, v13
	v_fma_f32 v16, -v14, v13, v1
	v_fma_f32 v17, -v15, v13, v1
	v_cmp_ge_f32_e64 s[14:15], 0, v16
	v_cndmask_b32_e64 v13, v13, v14, s[14:15]
	v_cmp_lt_f32_e64 s[14:15], 0, v17
	v_cndmask_b32_e64 v13, v13, v15, s[14:15]
	v_mul_f32_e32 v14, 0x37800000, v13
	v_cndmask_b32_e32 v13, v13, v14, vcc
	v_cmp_class_f32_e32 vcc, v1, v24
	v_cndmask_b32_e32 v1, v13, v1, vcc
	ds_write_b32 v27, v1 offset:1024
.LBB8_232:                              ;   in Loop: Header=BB8_21 Depth=2
	s_or_b64 exec, exec, s[16:17]
	s_waitcnt lgkmcnt(0)
	s_barrier
	ds_read2st64_b32 v[13:14], v27 offset0:4 offset1:8
	v_mov_b32_e32 v1, s19
	s_waitcnt lgkmcnt(0)
	v_ashrrev_i32_e32 v15, 31, v14
	v_lshlrev_b64 v[14:15], 2, v[14:15]
	v_add_co_u32_e32 v14, vcc, s18, v14
	v_addc_co_u32_e32 v15, vcc, v1, v15, vcc
	global_load_dword v1, v[14:15], off offset:-4
	s_waitcnt vmcnt(0)
	s_barrier
	s_and_saveexec_b64 s[14:15], s[8:9]
	s_cbranch_execz .LBB8_235
; %bb.233:                              ;   in Loop: Header=BB8_21 Depth=2
	v_cmp_nle_f32_e32 vcc, 0, v1
	v_cndmask_b32_e64 v1, 1.0, -1.0, vcc
	v_div_scale_f32 v14, s[16:17], v13, v13, v1
	v_div_scale_f32 v15, vcc, v1, v13, v1
	s_mov_b64 s[16:17], 0
	v_rcp_f32_e32 v16, v14
	v_fma_f32 v17, -v14, v16, 1.0
	v_fmac_f32_e32 v16, v17, v16
	v_mul_f32_e32 v17, v15, v16
	v_fma_f32 v18, -v14, v17, v15
	v_fmac_f32_e32 v17, v18, v16
	v_fma_f32 v14, -v14, v17, v15
	v_div_fmas_f32 v16, v14, v16, v17
	v_mov_b32_e32 v15, v4
	v_mov_b32_e32 v14, v3
	v_div_fixup_f32 v1, v16, v13, v1
	v_mov_b32_e32 v13, v0
.LBB8_234:                              ;   Parent Loop BB8_12 Depth=1
                                        ;     Parent Loop BB8_21 Depth=2
                                        ; =>    This Inner Loop Header: Depth=3
	global_load_dword v16, v[14:15], off
	v_add_u32_e32 v13, 0x100, v13
	v_cmp_lt_i32_e32 vcc, s68, v13
	s_or_b64 s[16:17], vcc, s[16:17]
	s_waitcnt vmcnt(0)
	v_mul_f32_e32 v16, v1, v16
	global_store_dword v[14:15], v16, off
	v_add_co_u32_e32 v14, vcc, 0x400, v14
	v_addc_co_u32_e32 v15, vcc, 0, v15, vcc
	s_andn2_b64 exec, exec, s[16:17]
	s_cbranch_execnz .LBB8_234
.LBB8_235:                              ;   in Loop: Header=BB8_21 Depth=2
	s_or_b64 exec, exec, s[14:15]
	s_waitcnt vmcnt(0)
	s_barrier
	s_and_saveexec_b64 s[16:17], s[6:7]
	s_cbranch_execz .LBB8_240
.LBB8_236:                              ;   in Loop: Header=BB8_21 Depth=2
	s_mov_b64 s[84:85], 0
	v_mov_b32_e32 v13, v0
	s_branch .LBB8_238
.LBB8_237:                              ;   in Loop: Header=BB8_238 Depth=3
	s_or_b64 exec, exec, s[14:15]
	v_add_u32_e32 v14, s50, v13
	v_ashrrev_i32_e32 v15, 31, v14
	v_lshlrev_b64 v[14:15], 2, v[14:15]
	v_mov_b32_e32 v16, s58
	v_add_co_u32_e32 v14, vcc, s36, v14
	v_addc_co_u32_e32 v15, vcc, v16, v15, vcc
	v_add_u32_e32 v13, 0x100, v13
	v_cmp_le_i32_e32 vcc, s28, v13
	s_or_b64 s[84:85], vcc, s[84:85]
	s_waitcnt vmcnt(0)
	global_store_dword v[14:15], v1, off
	s_andn2_b64 exec, exec, s[84:85]
	s_cbranch_execz .LBB8_240
.LBB8_238:                              ;   Parent Loop BB8_12 Depth=1
                                        ;     Parent Loop BB8_21 Depth=2
                                        ; =>    This Inner Loop Header: Depth=3
	v_cmp_le_i32_e32 vcc, s64, v13
	v_cmp_gt_i32_e64 s[14:15], s66, v13
	s_and_b64 s[86:87], vcc, s[14:15]
	v_mov_b32_e32 v1, 0
	s_and_saveexec_b64 s[14:15], s[86:87]
	s_cbranch_execz .LBB8_237
; %bb.239:                              ;   in Loop: Header=BB8_238 Depth=3
	v_add_u32_e32 v1, s69, v13
	v_lshlrev_b64 v[14:15], 2, v[1:2]
	v_mov_b32_e32 v1, s19
	v_add_co_u32_e32 v14, vcc, s18, v14
	v_addc_co_u32_e32 v15, vcc, v1, v15, vcc
	global_load_dword v1, v[14:15], off
	s_branch .LBB8_237
.LBB8_240:                              ;   in Loop: Header=BB8_21 Depth=2
	s_or_b64 exec, exec, s[16:17]
	s_add_i32 s49, s49, 1
	s_add_i32 s82, s82, 1
	;; [unrolled: 1-line block ×3, first 2 shown]
	s_cmp_ge_i32 s82, s48
	s_waitcnt vmcnt(0)
	s_barrier
	s_cselect_b64 s[14:15], -1, 0
	s_mov_b32 s16, s35
	s_and_b64 vcc, exec, s[14:15]
	s_cbranch_vccnz .LBB8_10
.LBB8_241:                              ;   in Loop: Header=BB8_21 Depth=2
	v_mov_b32_e32 v1, v28
	s_branch .LBB8_21
.LBB8_242:
	s_and_saveexec_b64 s[2:3], s[0:1]
	s_cbranch_execz .LBB8_244
; %bb.243:
	v_mov_b32_e32 v0, 0
	ds_read_b32 v1, v0
	v_readlane_b32 s4, v41, 4
	v_readlane_b32 s6, v41, 6
	v_readlane_b32 s7, v41, 7
	v_readlane_b32 s10, v41, 10
	v_readlane_b32 s11, v41, 11
	v_readlane_b32 s0, v41, 0
	s_mov_b64 s[6:7], s[10:11]
	v_readlane_b32 s1, v41, 1
	s_add_u32 s0, s6, s0
	s_addc_u32 s1, s7, s1
	v_readlane_b32 s5, v41, 5
	v_readlane_b32 s8, v41, 8
	;; [unrolled: 1-line block ×3, first 2 shown]
	s_waitcnt lgkmcnt(0)
	global_store_dword v0, v1, s[0:1]
.LBB8_244:
	s_endpgm
	.section	.rodata,"a",@progbits
	.p2align	6, 0x0
	.amdhsa_kernel _ZN9rocsolver6v33100L12stein_kernelIffPfEEviPT0_lS4_lPiS4_lS5_lS5_lT1_iilS5_lS5_S4_S5_S3_S3_
		.amdhsa_group_segment_fixed_size 8
		.amdhsa_private_segment_fixed_size 0
		.amdhsa_kernarg_size 168
		.amdhsa_user_sgpr_count 6
		.amdhsa_user_sgpr_private_segment_buffer 1
		.amdhsa_user_sgpr_dispatch_ptr 0
		.amdhsa_user_sgpr_queue_ptr 0
		.amdhsa_user_sgpr_kernarg_segment_ptr 1
		.amdhsa_user_sgpr_dispatch_id 0
		.amdhsa_user_sgpr_flat_scratch_init 0
		.amdhsa_user_sgpr_private_segment_size 0
		.amdhsa_uses_dynamic_stack 0
		.amdhsa_system_sgpr_private_segment_wavefront_offset 0
		.amdhsa_system_sgpr_workgroup_id_x 1
		.amdhsa_system_sgpr_workgroup_id_y 1
		.amdhsa_system_sgpr_workgroup_id_z 0
		.amdhsa_system_sgpr_workgroup_info 0
		.amdhsa_system_vgpr_workitem_id 0
		.amdhsa_next_free_vgpr 42
		.amdhsa_next_free_sgpr 96
		.amdhsa_reserve_vcc 1
		.amdhsa_reserve_flat_scratch 0
		.amdhsa_float_round_mode_32 0
		.amdhsa_float_round_mode_16_64 0
		.amdhsa_float_denorm_mode_32 3
		.amdhsa_float_denorm_mode_16_64 3
		.amdhsa_dx10_clamp 1
		.amdhsa_ieee_mode 1
		.amdhsa_fp16_overflow 0
		.amdhsa_exception_fp_ieee_invalid_op 0
		.amdhsa_exception_fp_denorm_src 0
		.amdhsa_exception_fp_ieee_div_zero 0
		.amdhsa_exception_fp_ieee_overflow 0
		.amdhsa_exception_fp_ieee_underflow 0
		.amdhsa_exception_fp_ieee_inexact 0
		.amdhsa_exception_int_div_zero 0
	.end_amdhsa_kernel
	.section	.text._ZN9rocsolver6v33100L12stein_kernelIffPfEEviPT0_lS4_lPiS4_lS5_lS5_lT1_iilS5_lS5_S4_S5_S3_S3_,"axG",@progbits,_ZN9rocsolver6v33100L12stein_kernelIffPfEEviPT0_lS4_lPiS4_lS5_lS5_lT1_iilS5_lS5_S4_S5_S3_S3_,comdat
.Lfunc_end8:
	.size	_ZN9rocsolver6v33100L12stein_kernelIffPfEEviPT0_lS4_lPiS4_lS5_lS5_lT1_iilS5_lS5_S4_S5_S3_S3_, .Lfunc_end8-_ZN9rocsolver6v33100L12stein_kernelIffPfEEviPT0_lS4_lPiS4_lS5_lS5_lT1_iilS5_lS5_S4_S5_S3_S3_
                                        ; -- End function
	.set _ZN9rocsolver6v33100L12stein_kernelIffPfEEviPT0_lS4_lPiS4_lS5_lS5_lT1_iilS5_lS5_S4_S5_S3_S3_.num_vgpr, 42
	.set _ZN9rocsolver6v33100L12stein_kernelIffPfEEviPT0_lS4_lPiS4_lS5_lS5_lT1_iilS5_lS5_S4_S5_S3_S3_.num_agpr, 0
	.set _ZN9rocsolver6v33100L12stein_kernelIffPfEEviPT0_lS4_lPiS4_lS5_lS5_lT1_iilS5_lS5_S4_S5_S3_S3_.numbered_sgpr, 96
	.set _ZN9rocsolver6v33100L12stein_kernelIffPfEEviPT0_lS4_lPiS4_lS5_lS5_lT1_iilS5_lS5_S4_S5_S3_S3_.num_named_barrier, 0
	.set _ZN9rocsolver6v33100L12stein_kernelIffPfEEviPT0_lS4_lPiS4_lS5_lS5_lT1_iilS5_lS5_S4_S5_S3_S3_.private_seg_size, 0
	.set _ZN9rocsolver6v33100L12stein_kernelIffPfEEviPT0_lS4_lPiS4_lS5_lS5_lT1_iilS5_lS5_S4_S5_S3_S3_.uses_vcc, 1
	.set _ZN9rocsolver6v33100L12stein_kernelIffPfEEviPT0_lS4_lPiS4_lS5_lS5_lT1_iilS5_lS5_S4_S5_S3_S3_.uses_flat_scratch, 0
	.set _ZN9rocsolver6v33100L12stein_kernelIffPfEEviPT0_lS4_lPiS4_lS5_lS5_lT1_iilS5_lS5_S4_S5_S3_S3_.has_dyn_sized_stack, 0
	.set _ZN9rocsolver6v33100L12stein_kernelIffPfEEviPT0_lS4_lPiS4_lS5_lS5_lT1_iilS5_lS5_S4_S5_S3_S3_.has_recursion, 0
	.set _ZN9rocsolver6v33100L12stein_kernelIffPfEEviPT0_lS4_lPiS4_lS5_lS5_lT1_iilS5_lS5_S4_S5_S3_S3_.has_indirect_call, 0
	.section	.AMDGPU.csdata,"",@progbits
; Kernel info:
; codeLenInByte = 9292
; TotalNumSgprs: 100
; NumVgprs: 42
; ScratchSize: 0
; MemoryBound: 0
; FloatMode: 240
; IeeeMode: 1
; LDSByteSize: 8 bytes/workgroup (compile time only)
; SGPRBlocks: 12
; VGPRBlocks: 10
; NumSGPRsForWavesPerEU: 100
; NumVGPRsForWavesPerEU: 42
; Occupancy: 5
; WaveLimiterHint : 1
; COMPUTE_PGM_RSRC2:SCRATCH_EN: 0
; COMPUTE_PGM_RSRC2:USER_SGPR: 6
; COMPUTE_PGM_RSRC2:TRAP_HANDLER: 0
; COMPUTE_PGM_RSRC2:TGID_X_EN: 1
; COMPUTE_PGM_RSRC2:TGID_Y_EN: 1
; COMPUTE_PGM_RSRC2:TGID_Z_EN: 0
; COMPUTE_PGM_RSRC2:TIDIG_COMP_CNT: 0
	.text
	.p2align	2                               ; -- Begin function __ockl_fprintf_append_string_n
	.type	__ockl_fprintf_append_string_n,@function
__ockl_fprintf_append_string_n:         ; @__ockl_fprintf_append_string_n
; %bb.0:
	s_waitcnt vmcnt(0) expcnt(0) lgkmcnt(0)
	v_mov_b32_e32 v8, v3
	v_mov_b32_e32 v7, v2
	v_or_b32_e32 v2, 2, v0
	v_cmp_eq_u32_e32 vcc, 0, v6
	v_cndmask_b32_e32 v0, v2, v0, vcc
	v_cmp_ne_u64_e32 vcc, 0, v[7:8]
	s_mov_b32 s22, 0
	s_mov_b64 s[6:7], 0
	v_mbcnt_lo_u32_b32 v2, -1, 0
	s_and_saveexec_b64 s[4:5], vcc
	s_xor_b64 s[10:11], exec, s[4:5]
	s_cbranch_execz .LBB9_86
; %bb.1:
	s_load_dwordx2 s[12:13], s[8:9], 0x50
	v_and_b32_e32 v6, 2, v0
	v_mov_b32_e32 v29, 0
	v_and_b32_e32 v0, -3, v0
	v_mbcnt_hi_u32_b32 v34, -1, v2
	s_movk_i32 s23, 0x1e0
	v_mov_b32_e32 v11, 2
	v_mov_b32_e32 v12, 1
	s_branch .LBB9_3
.LBB9_2:                                ;   in Loop: Header=BB9_3 Depth=1
	s_or_b64 exec, exec, s[16:17]
	v_sub_co_u32_e32 v4, vcc, v4, v30
	v_subb_co_u32_e32 v5, vcc, v5, v31, vcc
	v_cmp_eq_u64_e32 vcc, 0, v[4:5]
	s_or_b64 s[6:7], vcc, s[6:7]
	v_add_co_u32_e32 v7, vcc, v7, v30
	v_addc_co_u32_e32 v8, vcc, v8, v31, vcc
	s_andn2_b64 exec, exec, s[6:7]
	s_cbranch_execz .LBB9_85
.LBB9_3:                                ; =>This Loop Header: Depth=1
                                        ;     Child Loop BB9_6 Depth 2
                                        ;     Child Loop BB9_14 Depth 2
	;; [unrolled: 1-line block ×11, first 2 shown]
	v_cmp_gt_u64_e32 vcc, 56, v[4:5]
	v_add_co_u32_e64 v15, s[4:5], 8, v7
	v_cndmask_b32_e32 v31, 0, v5, vcc
	v_cndmask_b32_e32 v30, 56, v4, vcc
	v_cmp_gt_u64_e32 vcc, 8, v[4:5]
	v_addc_co_u32_e64 v16, s[4:5], 0, v8, s[4:5]
	s_and_saveexec_b64 s[4:5], vcc
	s_xor_b64 s[4:5], exec, s[4:5]
	s_cbranch_execz .LBB9_9
; %bb.4:                                ;   in Loop: Header=BB9_3 Depth=1
	s_waitcnt vmcnt(0)
	v_mov_b32_e32 v2, 0
	v_cmp_ne_u64_e32 vcc, 0, v[4:5]
	v_mov_b32_e32 v3, 0
	s_and_saveexec_b64 s[14:15], vcc
	s_cbranch_execz .LBB9_8
; %bb.5:                                ;   in Loop: Header=BB9_3 Depth=1
	v_lshlrev_b64 v[9:10], 3, v[30:31]
	v_mov_b32_e32 v2, 0
	v_mov_b32_e32 v14, v8
	s_mov_b64 s[16:17], 0
	v_mov_b32_e32 v3, 0
	v_mov_b32_e32 v13, v7
	s_mov_b64 s[18:19], 0
.LBB9_6:                                ;   Parent Loop BB9_3 Depth=1
                                        ; =>  This Inner Loop Header: Depth=2
	global_load_ubyte v10, v[13:14], off
	v_mov_b32_e32 v16, s22
	v_add_co_u32_e32 v13, vcc, 1, v13
	v_addc_co_u32_e32 v14, vcc, 0, v14, vcc
	s_waitcnt vmcnt(0)
	v_and_b32_e32 v15, 0xffff, v10
	v_lshlrev_b64 v[15:16], s18, v[15:16]
	s_add_u32 s18, s18, 8
	s_addc_u32 s19, s19, 0
	v_cmp_eq_u32_e32 vcc, s18, v9
	v_or_b32_e32 v3, v16, v3
	s_or_b64 s[16:17], vcc, s[16:17]
	v_or_b32_e32 v2, v15, v2
	s_andn2_b64 exec, exec, s[16:17]
	s_cbranch_execnz .LBB9_6
; %bb.7:                                ;   in Loop: Header=BB9_3 Depth=1
	s_or_b64 exec, exec, s[16:17]
.LBB9_8:                                ;   in Loop: Header=BB9_3 Depth=1
	s_or_b64 exec, exec, s[14:15]
	v_mov_b32_e32 v16, v8
	v_mov_b32_e32 v15, v7
.LBB9_9:                                ;   in Loop: Header=BB9_3 Depth=1
	s_or_saveexec_b64 s[4:5], s[4:5]
	v_mov_b32_e32 v17, 0
	s_xor_b64 exec, exec, s[4:5]
	s_cbranch_execz .LBB9_11
; %bb.10:                               ;   in Loop: Header=BB9_3 Depth=1
	global_load_dwordx2 v[2:3], v[7:8], off
	v_add_u32_e32 v17, -8, v30
.LBB9_11:                               ;   in Loop: Header=BB9_3 Depth=1
	s_or_b64 exec, exec, s[4:5]
	v_add_co_u32_e64 v9, s[4:5], 8, v15
	v_cmp_gt_u32_e32 vcc, 8, v17
	v_addc_co_u32_e64 v10, s[4:5], 0, v16, s[4:5]
                                        ; implicit-def: $vgpr13_vgpr14
	s_and_saveexec_b64 s[4:5], vcc
	s_xor_b64 s[4:5], exec, s[4:5]
	s_cbranch_execz .LBB9_17
; %bb.12:                               ;   in Loop: Header=BB9_3 Depth=1
	v_mov_b32_e32 v13, 0
	v_mov_b32_e32 v14, 0
	v_cmp_ne_u32_e32 vcc, 0, v17
	s_and_saveexec_b64 s[14:15], vcc
	s_cbranch_execz .LBB9_16
; %bb.13:                               ;   in Loop: Header=BB9_3 Depth=1
	v_mov_b32_e32 v13, 0
	s_mov_b64 s[16:17], 0
	v_mov_b32_e32 v14, 0
	s_mov_b64 s[18:19], 0
	s_mov_b64 s[20:21], 0
.LBB9_14:                               ;   Parent Loop BB9_3 Depth=1
                                        ; =>  This Inner Loop Header: Depth=2
	v_mov_b32_e32 v10, s21
	v_add_co_u32_e32 v9, vcc, s20, v15
	v_addc_co_u32_e32 v10, vcc, v16, v10, vcc
	global_load_ubyte v9, v[9:10], off
	s_add_u32 s20, s20, 1
	v_mov_b32_e32 v10, s22
	s_addc_u32 s21, s21, 0
	v_cmp_eq_u32_e32 vcc, s20, v17
	s_waitcnt vmcnt(0)
	v_and_b32_e32 v9, 0xffff, v9
	v_lshlrev_b64 v[9:10], s18, v[9:10]
	s_add_u32 s18, s18, 8
	s_addc_u32 s19, s19, 0
	v_or_b32_e32 v14, v10, v14
	s_or_b64 s[16:17], vcc, s[16:17]
	v_or_b32_e32 v13, v9, v13
	s_andn2_b64 exec, exec, s[16:17]
	s_cbranch_execnz .LBB9_14
; %bb.15:                               ;   in Loop: Header=BB9_3 Depth=1
	s_or_b64 exec, exec, s[16:17]
.LBB9_16:                               ;   in Loop: Header=BB9_3 Depth=1
	s_or_b64 exec, exec, s[14:15]
	v_mov_b32_e32 v9, v15
	v_mov_b32_e32 v10, v16
                                        ; implicit-def: $vgpr17
.LBB9_17:                               ;   in Loop: Header=BB9_3 Depth=1
	s_or_saveexec_b64 s[4:5], s[4:5]
	v_mov_b32_e32 v18, 0
	s_xor_b64 exec, exec, s[4:5]
	s_cbranch_execz .LBB9_19
; %bb.18:                               ;   in Loop: Header=BB9_3 Depth=1
	global_load_dwordx2 v[13:14], v[15:16], off
	v_add_u32_e32 v18, -8, v17
.LBB9_19:                               ;   in Loop: Header=BB9_3 Depth=1
	s_or_b64 exec, exec, s[4:5]
	v_add_co_u32_e64 v19, s[4:5], 8, v9
	v_cmp_gt_u32_e32 vcc, 8, v18
	v_addc_co_u32_e64 v20, s[4:5], 0, v10, s[4:5]
	s_and_saveexec_b64 s[4:5], vcc
	s_xor_b64 s[4:5], exec, s[4:5]
	s_cbranch_execz .LBB9_25
; %bb.20:                               ;   in Loop: Header=BB9_3 Depth=1
	v_mov_b32_e32 v15, 0
	v_mov_b32_e32 v16, 0
	v_cmp_ne_u32_e32 vcc, 0, v18
	s_and_saveexec_b64 s[14:15], vcc
	s_cbranch_execz .LBB9_24
; %bb.21:                               ;   in Loop: Header=BB9_3 Depth=1
	v_mov_b32_e32 v15, 0
	s_mov_b64 s[16:17], 0
	v_mov_b32_e32 v16, 0
	s_mov_b64 s[18:19], 0
	s_mov_b64 s[20:21], 0
.LBB9_22:                               ;   Parent Loop BB9_3 Depth=1
                                        ; =>  This Inner Loop Header: Depth=2
	v_mov_b32_e32 v17, s21
	v_add_co_u32_e32 v19, vcc, s20, v9
	v_addc_co_u32_e32 v20, vcc, v10, v17, vcc
	global_load_ubyte v17, v[19:20], off
	s_add_u32 s20, s20, 1
	v_mov_b32_e32 v20, s22
	s_addc_u32 s21, s21, 0
	v_cmp_eq_u32_e32 vcc, s20, v18
	s_waitcnt vmcnt(0)
	v_and_b32_e32 v19, 0xffff, v17
	v_lshlrev_b64 v[19:20], s18, v[19:20]
	s_add_u32 s18, s18, 8
	s_addc_u32 s19, s19, 0
	v_or_b32_e32 v16, v20, v16
	s_or_b64 s[16:17], vcc, s[16:17]
	v_or_b32_e32 v15, v19, v15
	s_andn2_b64 exec, exec, s[16:17]
	s_cbranch_execnz .LBB9_22
; %bb.23:                               ;   in Loop: Header=BB9_3 Depth=1
	s_or_b64 exec, exec, s[16:17]
.LBB9_24:                               ;   in Loop: Header=BB9_3 Depth=1
	s_or_b64 exec, exec, s[14:15]
	v_mov_b32_e32 v20, v10
	v_mov_b32_e32 v19, v9
                                        ; implicit-def: $vgpr18
.LBB9_25:                               ;   in Loop: Header=BB9_3 Depth=1
	s_or_saveexec_b64 s[4:5], s[4:5]
	v_mov_b32_e32 v21, 0
	s_xor_b64 exec, exec, s[4:5]
	s_cbranch_execz .LBB9_27
; %bb.26:                               ;   in Loop: Header=BB9_3 Depth=1
	global_load_dwordx2 v[15:16], v[9:10], off
	v_add_u32_e32 v21, -8, v18
.LBB9_27:                               ;   in Loop: Header=BB9_3 Depth=1
	s_or_b64 exec, exec, s[4:5]
	v_add_co_u32_e64 v9, s[4:5], 8, v19
	v_cmp_gt_u32_e32 vcc, 8, v21
	v_addc_co_u32_e64 v10, s[4:5], 0, v20, s[4:5]
                                        ; implicit-def: $vgpr17_vgpr18
	s_and_saveexec_b64 s[4:5], vcc
	s_xor_b64 s[4:5], exec, s[4:5]
	s_cbranch_execz .LBB9_33
; %bb.28:                               ;   in Loop: Header=BB9_3 Depth=1
	v_mov_b32_e32 v17, 0
	v_mov_b32_e32 v18, 0
	v_cmp_ne_u32_e32 vcc, 0, v21
	s_and_saveexec_b64 s[14:15], vcc
	s_cbranch_execz .LBB9_32
; %bb.29:                               ;   in Loop: Header=BB9_3 Depth=1
	v_mov_b32_e32 v17, 0
	s_mov_b64 s[16:17], 0
	v_mov_b32_e32 v18, 0
	s_mov_b64 s[18:19], 0
	s_mov_b64 s[20:21], 0
.LBB9_30:                               ;   Parent Loop BB9_3 Depth=1
                                        ; =>  This Inner Loop Header: Depth=2
	v_mov_b32_e32 v10, s21
	v_add_co_u32_e32 v9, vcc, s20, v19
	v_addc_co_u32_e32 v10, vcc, v20, v10, vcc
	global_load_ubyte v9, v[9:10], off
	s_add_u32 s20, s20, 1
	v_mov_b32_e32 v10, s22
	s_addc_u32 s21, s21, 0
	v_cmp_eq_u32_e32 vcc, s20, v21
	s_waitcnt vmcnt(0)
	v_and_b32_e32 v9, 0xffff, v9
	v_lshlrev_b64 v[9:10], s18, v[9:10]
	s_add_u32 s18, s18, 8
	s_addc_u32 s19, s19, 0
	v_or_b32_e32 v18, v10, v18
	s_or_b64 s[16:17], vcc, s[16:17]
	v_or_b32_e32 v17, v9, v17
	s_andn2_b64 exec, exec, s[16:17]
	s_cbranch_execnz .LBB9_30
; %bb.31:                               ;   in Loop: Header=BB9_3 Depth=1
	s_or_b64 exec, exec, s[16:17]
.LBB9_32:                               ;   in Loop: Header=BB9_3 Depth=1
	s_or_b64 exec, exec, s[14:15]
	v_mov_b32_e32 v9, v19
	v_mov_b32_e32 v10, v20
                                        ; implicit-def: $vgpr21
.LBB9_33:                               ;   in Loop: Header=BB9_3 Depth=1
	s_or_saveexec_b64 s[4:5], s[4:5]
	v_mov_b32_e32 v22, 0
	s_xor_b64 exec, exec, s[4:5]
	s_cbranch_execz .LBB9_35
; %bb.34:                               ;   in Loop: Header=BB9_3 Depth=1
	global_load_dwordx2 v[17:18], v[19:20], off
	v_add_u32_e32 v22, -8, v21
.LBB9_35:                               ;   in Loop: Header=BB9_3 Depth=1
	s_or_b64 exec, exec, s[4:5]
	v_add_co_u32_e64 v23, s[4:5], 8, v9
	v_cmp_gt_u32_e32 vcc, 8, v22
	v_addc_co_u32_e64 v24, s[4:5], 0, v10, s[4:5]
	s_and_saveexec_b64 s[4:5], vcc
	s_xor_b64 s[4:5], exec, s[4:5]
	s_cbranch_execz .LBB9_41
; %bb.36:                               ;   in Loop: Header=BB9_3 Depth=1
	v_mov_b32_e32 v19, 0
	v_mov_b32_e32 v20, 0
	v_cmp_ne_u32_e32 vcc, 0, v22
	s_and_saveexec_b64 s[14:15], vcc
	s_cbranch_execz .LBB9_40
; %bb.37:                               ;   in Loop: Header=BB9_3 Depth=1
	v_mov_b32_e32 v19, 0
	s_mov_b64 s[16:17], 0
	v_mov_b32_e32 v20, 0
	s_mov_b64 s[18:19], 0
	s_mov_b64 s[20:21], 0
.LBB9_38:                               ;   Parent Loop BB9_3 Depth=1
                                        ; =>  This Inner Loop Header: Depth=2
	v_mov_b32_e32 v21, s21
	v_add_co_u32_e32 v23, vcc, s20, v9
	v_addc_co_u32_e32 v24, vcc, v10, v21, vcc
	global_load_ubyte v21, v[23:24], off
	s_add_u32 s20, s20, 1
	v_mov_b32_e32 v24, s22
	s_addc_u32 s21, s21, 0
	v_cmp_eq_u32_e32 vcc, s20, v22
	s_waitcnt vmcnt(0)
	v_and_b32_e32 v23, 0xffff, v21
	v_lshlrev_b64 v[23:24], s18, v[23:24]
	s_add_u32 s18, s18, 8
	s_addc_u32 s19, s19, 0
	v_or_b32_e32 v20, v24, v20
	s_or_b64 s[16:17], vcc, s[16:17]
	v_or_b32_e32 v19, v23, v19
	s_andn2_b64 exec, exec, s[16:17]
	s_cbranch_execnz .LBB9_38
; %bb.39:                               ;   in Loop: Header=BB9_3 Depth=1
	s_or_b64 exec, exec, s[16:17]
.LBB9_40:                               ;   in Loop: Header=BB9_3 Depth=1
	s_or_b64 exec, exec, s[14:15]
	v_mov_b32_e32 v24, v10
	v_mov_b32_e32 v23, v9
                                        ; implicit-def: $vgpr22
.LBB9_41:                               ;   in Loop: Header=BB9_3 Depth=1
	s_or_saveexec_b64 s[4:5], s[4:5]
	v_mov_b32_e32 v25, 0
	s_xor_b64 exec, exec, s[4:5]
	s_cbranch_execz .LBB9_43
; %bb.42:                               ;   in Loop: Header=BB9_3 Depth=1
	global_load_dwordx2 v[19:20], v[9:10], off
	v_add_u32_e32 v25, -8, v22
.LBB9_43:                               ;   in Loop: Header=BB9_3 Depth=1
	s_or_b64 exec, exec, s[4:5]
	v_add_co_u32_e64 v9, s[4:5], 8, v23
	v_cmp_gt_u32_e32 vcc, 8, v25
	v_addc_co_u32_e64 v10, s[4:5], 0, v24, s[4:5]
                                        ; implicit-def: $vgpr21_vgpr22
	s_and_saveexec_b64 s[4:5], vcc
	s_xor_b64 s[4:5], exec, s[4:5]
	s_cbranch_execz .LBB9_49
; %bb.44:                               ;   in Loop: Header=BB9_3 Depth=1
	v_mov_b32_e32 v21, 0
	v_mov_b32_e32 v22, 0
	v_cmp_ne_u32_e32 vcc, 0, v25
	s_and_saveexec_b64 s[14:15], vcc
	s_cbranch_execz .LBB9_48
; %bb.45:                               ;   in Loop: Header=BB9_3 Depth=1
	v_mov_b32_e32 v21, 0
	s_mov_b64 s[16:17], 0
	v_mov_b32_e32 v22, 0
	s_mov_b64 s[18:19], 0
	s_mov_b64 s[20:21], 0
.LBB9_46:                               ;   Parent Loop BB9_3 Depth=1
                                        ; =>  This Inner Loop Header: Depth=2
	v_mov_b32_e32 v10, s21
	v_add_co_u32_e32 v9, vcc, s20, v23
	v_addc_co_u32_e32 v10, vcc, v24, v10, vcc
	global_load_ubyte v9, v[9:10], off
	s_add_u32 s20, s20, 1
	v_mov_b32_e32 v10, s22
	s_addc_u32 s21, s21, 0
	v_cmp_eq_u32_e32 vcc, s20, v25
	s_waitcnt vmcnt(0)
	v_and_b32_e32 v9, 0xffff, v9
	v_lshlrev_b64 v[9:10], s18, v[9:10]
	s_add_u32 s18, s18, 8
	s_addc_u32 s19, s19, 0
	v_or_b32_e32 v22, v10, v22
	s_or_b64 s[16:17], vcc, s[16:17]
	v_or_b32_e32 v21, v9, v21
	s_andn2_b64 exec, exec, s[16:17]
	s_cbranch_execnz .LBB9_46
; %bb.47:                               ;   in Loop: Header=BB9_3 Depth=1
	s_or_b64 exec, exec, s[16:17]
.LBB9_48:                               ;   in Loop: Header=BB9_3 Depth=1
	s_or_b64 exec, exec, s[14:15]
	v_mov_b32_e32 v9, v23
	v_mov_b32_e32 v10, v24
                                        ; implicit-def: $vgpr25
.LBB9_49:                               ;   in Loop: Header=BB9_3 Depth=1
	s_or_saveexec_b64 s[4:5], s[4:5]
	v_mov_b32_e32 v26, 0
	s_xor_b64 exec, exec, s[4:5]
	s_cbranch_execz .LBB9_51
; %bb.50:                               ;   in Loop: Header=BB9_3 Depth=1
	global_load_dwordx2 v[21:22], v[23:24], off
	v_add_u32_e32 v26, -8, v25
.LBB9_51:                               ;   in Loop: Header=BB9_3 Depth=1
	s_or_b64 exec, exec, s[4:5]
	v_cmp_gt_u32_e32 vcc, 8, v26
	s_and_saveexec_b64 s[4:5], vcc
	s_xor_b64 s[4:5], exec, s[4:5]
	s_cbranch_execz .LBB9_57
; %bb.52:                               ;   in Loop: Header=BB9_3 Depth=1
	v_mov_b32_e32 v23, 0
	v_mov_b32_e32 v24, 0
	v_cmp_ne_u32_e32 vcc, 0, v26
	s_and_saveexec_b64 s[14:15], vcc
	s_cbranch_execz .LBB9_56
; %bb.53:                               ;   in Loop: Header=BB9_3 Depth=1
	v_mov_b32_e32 v23, 0
	s_mov_b64 s[16:17], 0
	v_mov_b32_e32 v24, 0
	s_mov_b64 s[18:19], 0
.LBB9_54:                               ;   Parent Loop BB9_3 Depth=1
                                        ; =>  This Inner Loop Header: Depth=2
	global_load_ubyte v25, v[9:10], off
	v_mov_b32_e32 v28, s22
	v_add_co_u32_e32 v9, vcc, 1, v9
	v_add_u32_e32 v26, -1, v26
	v_addc_co_u32_e32 v10, vcc, 0, v10, vcc
	v_cmp_eq_u32_e32 vcc, 0, v26
	s_waitcnt vmcnt(0)
	v_and_b32_e32 v27, 0xffff, v25
	v_lshlrev_b64 v[27:28], s18, v[27:28]
	s_add_u32 s18, s18, 8
	s_addc_u32 s19, s19, 0
	v_or_b32_e32 v24, v28, v24
	s_or_b64 s[16:17], vcc, s[16:17]
	v_or_b32_e32 v23, v27, v23
	s_andn2_b64 exec, exec, s[16:17]
	s_cbranch_execnz .LBB9_54
; %bb.55:                               ;   in Loop: Header=BB9_3 Depth=1
	s_or_b64 exec, exec, s[16:17]
.LBB9_56:                               ;   in Loop: Header=BB9_3 Depth=1
	s_or_b64 exec, exec, s[14:15]
                                        ; implicit-def: $vgpr9_vgpr10
.LBB9_57:                               ;   in Loop: Header=BB9_3 Depth=1
	s_andn2_saveexec_b64 s[4:5], s[4:5]
	s_cbranch_execz .LBB9_59
; %bb.58:                               ;   in Loop: Header=BB9_3 Depth=1
	global_load_dwordx2 v[23:24], v[9:10], off
.LBB9_59:                               ;   in Loop: Header=BB9_3 Depth=1
	s_or_b64 exec, exec, s[4:5]
	v_readfirstlane_b32 s4, v34
	v_mov_b32_e32 v9, 0
	v_mov_b32_e32 v10, 0
	v_cmp_eq_u32_e64 s[4:5], s4, v34
	s_and_saveexec_b64 s[14:15], s[4:5]
	s_cbranch_execz .LBB9_65
; %bb.60:                               ;   in Loop: Header=BB9_3 Depth=1
	s_waitcnt lgkmcnt(0)
	global_load_dwordx2 v[27:28], v29, s[12:13] offset:24 glc
	s_waitcnt vmcnt(0)
	buffer_wbinvl1_vol
	global_load_dwordx2 v[9:10], v29, s[12:13] offset:40
	global_load_dwordx2 v[25:26], v29, s[12:13]
	s_waitcnt vmcnt(1)
	v_and_b32_e32 v9, v9, v27
	v_and_b32_e32 v10, v10, v28
	v_mul_lo_u32 v10, v10, 24
	v_mul_hi_u32 v32, v9, 24
	v_mul_lo_u32 v9, v9, 24
	v_add_u32_e32 v10, v32, v10
	s_waitcnt vmcnt(0)
	v_add_co_u32_e32 v9, vcc, v25, v9
	v_addc_co_u32_e32 v10, vcc, v26, v10, vcc
	global_load_dwordx2 v[25:26], v[9:10], off glc
	s_waitcnt vmcnt(0)
	global_atomic_cmpswap_x2 v[9:10], v29, v[25:28], s[12:13] offset:24 glc
	s_waitcnt vmcnt(0)
	buffer_wbinvl1_vol
	v_cmp_ne_u64_e32 vcc, v[9:10], v[27:28]
	s_and_saveexec_b64 s[16:17], vcc
	s_cbranch_execz .LBB9_64
; %bb.61:                               ;   in Loop: Header=BB9_3 Depth=1
	s_mov_b64 s[18:19], 0
.LBB9_62:                               ;   Parent Loop BB9_3 Depth=1
                                        ; =>  This Inner Loop Header: Depth=2
	s_sleep 1
	global_load_dwordx2 v[25:26], v29, s[12:13] offset:40
	global_load_dwordx2 v[32:33], v29, s[12:13]
	v_mov_b32_e32 v28, v10
	v_mov_b32_e32 v27, v9
	s_waitcnt vmcnt(1)
	v_and_b32_e32 v9, v25, v27
	s_waitcnt vmcnt(0)
	v_mad_u64_u32 v[9:10], s[20:21], v9, 24, v[32:33]
	v_and_b32_e32 v25, v26, v28
	v_mad_u64_u32 v[25:26], s[20:21], v25, 24, v[10:11]
	v_mov_b32_e32 v10, v25
	global_load_dwordx2 v[25:26], v[9:10], off glc
	s_waitcnt vmcnt(0)
	global_atomic_cmpswap_x2 v[9:10], v29, v[25:28], s[12:13] offset:24 glc
	s_waitcnt vmcnt(0)
	buffer_wbinvl1_vol
	v_cmp_eq_u64_e32 vcc, v[9:10], v[27:28]
	s_or_b64 s[18:19], vcc, s[18:19]
	s_andn2_b64 exec, exec, s[18:19]
	s_cbranch_execnz .LBB9_62
; %bb.63:                               ;   in Loop: Header=BB9_3 Depth=1
	s_or_b64 exec, exec, s[18:19]
.LBB9_64:                               ;   in Loop: Header=BB9_3 Depth=1
	s_or_b64 exec, exec, s[16:17]
.LBB9_65:                               ;   in Loop: Header=BB9_3 Depth=1
	s_or_b64 exec, exec, s[14:15]
	s_waitcnt lgkmcnt(0)
	global_load_dwordx2 v[32:33], v29, s[12:13] offset:40
	global_load_dwordx4 v[25:28], v29, s[12:13]
	v_readfirstlane_b32 s15, v10
	v_readfirstlane_b32 s14, v9
	s_mov_b64 s[16:17], exec
	s_waitcnt vmcnt(1)
	v_readfirstlane_b32 s18, v32
	v_readfirstlane_b32 s19, v33
	s_and_b64 s[18:19], s[18:19], s[14:15]
	s_mul_i32 s20, s19, 24
	s_mul_hi_u32 s21, s18, 24
	s_mul_i32 s24, s18, 24
	s_add_i32 s20, s21, s20
	v_mov_b32_e32 v9, s20
	s_waitcnt vmcnt(0)
	v_add_co_u32_e32 v32, vcc, s24, v25
	v_addc_co_u32_e32 v33, vcc, v26, v9, vcc
	s_and_saveexec_b64 s[20:21], s[4:5]
	s_cbranch_execz .LBB9_67
; %bb.66:                               ;   in Loop: Header=BB9_3 Depth=1
	v_mov_b32_e32 v9, s16
	v_mov_b32_e32 v10, s17
	global_store_dwordx4 v[32:33], v[9:12], off offset:8
.LBB9_67:                               ;   in Loop: Header=BB9_3 Depth=1
	s_or_b64 exec, exec, s[20:21]
	s_lshl_b64 s[16:17], s[18:19], 12
	v_mov_b32_e32 v9, s17
	v_add_co_u32_e32 v27, vcc, s16, v27
	v_addc_co_u32_e32 v35, vcc, v28, v9, vcc
	v_cmp_gt_u64_e32 vcc, 57, v[4:5]
	v_and_b32_e32 v0, 0xffffff1f, v0
	v_cndmask_b32_e32 v9, 0, v6, vcc
	v_lshl_add_u32 v10, v30, 2, 28
	v_or_b32_e32 v0, v0, v9
	v_and_or_b32 v0, v10, s23, v0
	v_lshlrev_b32_e32 v36, 6, v34
	v_readfirstlane_b32 s16, v27
	v_readfirstlane_b32 s17, v35
	s_nop 4
	global_store_dwordx4 v36, v[0:3], s[16:17]
	global_store_dwordx4 v36, v[13:16], s[16:17] offset:16
	global_store_dwordx4 v36, v[17:20], s[16:17] offset:32
	;; [unrolled: 1-line block ×3, first 2 shown]
	s_and_saveexec_b64 s[16:17], s[4:5]
	s_cbranch_execz .LBB9_75
; %bb.68:                               ;   in Loop: Header=BB9_3 Depth=1
	global_load_dwordx2 v[15:16], v29, s[12:13] offset:32 glc
	global_load_dwordx2 v[0:1], v29, s[12:13] offset:40
	v_mov_b32_e32 v13, s14
	v_mov_b32_e32 v14, s15
	s_waitcnt vmcnt(0)
	v_readfirstlane_b32 s18, v0
	v_readfirstlane_b32 s19, v1
	s_and_b64 s[18:19], s[18:19], s[14:15]
	s_mul_i32 s19, s19, 24
	s_mul_hi_u32 s20, s18, 24
	s_mul_i32 s18, s18, 24
	s_add_i32 s19, s20, s19
	v_mov_b32_e32 v0, s19
	v_add_co_u32_e32 v9, vcc, s18, v25
	v_addc_co_u32_e32 v10, vcc, v26, v0, vcc
	global_store_dwordx2 v[9:10], v[15:16], off
	s_waitcnt vmcnt(0)
	global_atomic_cmpswap_x2 v[2:3], v29, v[13:16], s[12:13] offset:32 glc
	s_waitcnt vmcnt(0)
	v_cmp_ne_u64_e32 vcc, v[2:3], v[15:16]
	s_and_saveexec_b64 s[18:19], vcc
	s_cbranch_execz .LBB9_71
; %bb.69:                               ;   in Loop: Header=BB9_3 Depth=1
	s_mov_b64 s[20:21], 0
.LBB9_70:                               ;   Parent Loop BB9_3 Depth=1
                                        ; =>  This Inner Loop Header: Depth=2
	s_sleep 1
	global_store_dwordx2 v[9:10], v[2:3], off
	v_mov_b32_e32 v0, s14
	v_mov_b32_e32 v1, s15
	s_waitcnt vmcnt(0)
	global_atomic_cmpswap_x2 v[0:1], v29, v[0:3], s[12:13] offset:32 glc
	s_waitcnt vmcnt(0)
	v_cmp_eq_u64_e32 vcc, v[0:1], v[2:3]
	v_mov_b32_e32 v3, v1
	s_or_b64 s[20:21], vcc, s[20:21]
	v_mov_b32_e32 v2, v0
	s_andn2_b64 exec, exec, s[20:21]
	s_cbranch_execnz .LBB9_70
.LBB9_71:                               ;   in Loop: Header=BB9_3 Depth=1
	s_or_b64 exec, exec, s[18:19]
	global_load_dwordx2 v[0:1], v29, s[12:13] offset:16
	s_mov_b64 s[20:21], exec
	v_mbcnt_lo_u32_b32 v2, s20, 0
	v_mbcnt_hi_u32_b32 v2, s21, v2
	v_cmp_eq_u32_e32 vcc, 0, v2
	s_and_saveexec_b64 s[18:19], vcc
	s_cbranch_execz .LBB9_73
; %bb.72:                               ;   in Loop: Header=BB9_3 Depth=1
	s_bcnt1_i32_b64 s20, s[20:21]
	v_mov_b32_e32 v28, s20
	s_waitcnt vmcnt(0)
	global_atomic_add_x2 v[0:1], v[28:29], off offset:8
.LBB9_73:                               ;   in Loop: Header=BB9_3 Depth=1
	s_or_b64 exec, exec, s[18:19]
	s_waitcnt vmcnt(0)
	global_load_dwordx2 v[2:3], v[0:1], off offset:16
	s_waitcnt vmcnt(0)
	v_cmp_eq_u64_e32 vcc, 0, v[2:3]
	s_cbranch_vccnz .LBB9_75
; %bb.74:                               ;   in Loop: Header=BB9_3 Depth=1
	global_load_dword v28, v[0:1], off offset:24
	s_waitcnt vmcnt(0)
	v_readfirstlane_b32 s18, v28
	s_and_b32 m0, s18, 0xffffff
	global_store_dwordx2 v[2:3], v[28:29], off
	s_sendmsg sendmsg(MSG_INTERRUPT)
.LBB9_75:                               ;   in Loop: Header=BB9_3 Depth=1
	s_or_b64 exec, exec, s[16:17]
	v_add_co_u32_e32 v0, vcc, v27, v36
	v_addc_co_u32_e32 v1, vcc, 0, v35, vcc
	s_branch .LBB9_79
.LBB9_76:                               ;   in Loop: Header=BB9_79 Depth=2
	s_or_b64 exec, exec, s[16:17]
	v_readfirstlane_b32 s16, v2
	s_cmp_eq_u32 s16, 0
	s_cbranch_scc1 .LBB9_78
; %bb.77:                               ;   in Loop: Header=BB9_79 Depth=2
	s_sleep 1
	s_cbranch_execnz .LBB9_79
	s_branch .LBB9_81
.LBB9_78:                               ;   in Loop: Header=BB9_3 Depth=1
	s_branch .LBB9_81
.LBB9_79:                               ;   Parent Loop BB9_3 Depth=1
                                        ; =>  This Inner Loop Header: Depth=2
	v_mov_b32_e32 v2, 1
	s_and_saveexec_b64 s[16:17], s[4:5]
	s_cbranch_execz .LBB9_76
; %bb.80:                               ;   in Loop: Header=BB9_79 Depth=2
	global_load_dword v2, v[32:33], off offset:20 glc
	s_waitcnt vmcnt(0)
	buffer_wbinvl1_vol
	v_and_b32_e32 v2, 1, v2
	s_branch .LBB9_76
.LBB9_81:                               ;   in Loop: Header=BB9_3 Depth=1
	global_load_dwordx4 v[0:3], v[0:1], off
	s_and_saveexec_b64 s[16:17], s[4:5]
	s_cbranch_execz .LBB9_2
; %bb.82:                               ;   in Loop: Header=BB9_3 Depth=1
	global_load_dwordx2 v[2:3], v29, s[12:13] offset:40
	global_load_dwordx2 v[17:18], v29, s[12:13] offset:24 glc
	global_load_dwordx2 v[9:10], v29, s[12:13]
	s_waitcnt vmcnt(2)
	v_readfirstlane_b32 s18, v2
	v_readfirstlane_b32 s19, v3
	s_add_u32 s20, s18, 1
	s_addc_u32 s21, s19, 0
	s_add_u32 s4, s20, s14
	s_addc_u32 s5, s21, s15
	s_cmp_eq_u64 s[4:5], 0
	s_cselect_b32 s5, s21, s5
	s_cselect_b32 s4, s20, s4
	s_and_b64 s[14:15], s[4:5], s[18:19]
	s_mul_i32 s15, s15, 24
	s_mul_hi_u32 s18, s14, 24
	s_mul_i32 s14, s14, 24
	s_add_i32 s15, s18, s15
	v_mov_b32_e32 v3, s15
	s_waitcnt vmcnt(0)
	v_add_co_u32_e32 v2, vcc, s14, v9
	v_addc_co_u32_e32 v3, vcc, v10, v3, vcc
	v_mov_b32_e32 v15, s4
	global_store_dwordx2 v[2:3], v[17:18], off
	v_mov_b32_e32 v16, s5
	s_waitcnt vmcnt(0)
	global_atomic_cmpswap_x2 v[15:16], v29, v[15:18], s[12:13] offset:24 glc
	s_waitcnt vmcnt(0)
	v_cmp_ne_u64_e32 vcc, v[15:16], v[17:18]
	s_and_b64 exec, exec, vcc
	s_cbranch_execz .LBB9_2
; %bb.83:                               ;   in Loop: Header=BB9_3 Depth=1
	s_mov_b64 s[14:15], 0
.LBB9_84:                               ;   Parent Loop BB9_3 Depth=1
                                        ; =>  This Inner Loop Header: Depth=2
	s_sleep 1
	global_store_dwordx2 v[2:3], v[15:16], off
	v_mov_b32_e32 v13, s4
	v_mov_b32_e32 v14, s5
	s_waitcnt vmcnt(0)
	global_atomic_cmpswap_x2 v[9:10], v29, v[13:16], s[12:13] offset:24 glc
	s_waitcnt vmcnt(0)
	v_cmp_eq_u64_e32 vcc, v[9:10], v[15:16]
	v_mov_b32_e32 v16, v10
	s_or_b64 s[14:15], vcc, s[14:15]
	v_mov_b32_e32 v15, v9
	s_andn2_b64 exec, exec, s[14:15]
	s_cbranch_execnz .LBB9_84
	s_branch .LBB9_2
.LBB9_85:
	s_or_b64 exec, exec, s[6:7]
                                        ; implicit-def: $vgpr0
                                        ; implicit-def: $vgpr1
                                        ; implicit-def: $vgpr2
.LBB9_86:
	s_andn2_saveexec_b64 s[6:7], s[10:11]
	s_cbranch_execz .LBB9_109
; %bb.87:
	s_load_dwordx2 s[8:9], s[8:9], 0x50
	s_waitcnt vmcnt(0)
	v_mbcnt_hi_u32_b32 v3, -1, v2
	v_readfirstlane_b32 s4, v3
	v_mov_b32_e32 v8, 0
	v_mov_b32_e32 v9, 0
	v_cmp_eq_u32_e64 s[4:5], s4, v3
	s_and_saveexec_b64 s[10:11], s[4:5]
	s_cbranch_execz .LBB9_93
; %bb.88:
	v_mov_b32_e32 v2, 0
	s_waitcnt lgkmcnt(0)
	global_load_dwordx2 v[6:7], v2, s[8:9] offset:24 glc
	s_waitcnt vmcnt(0)
	buffer_wbinvl1_vol
	global_load_dwordx2 v[4:5], v2, s[8:9] offset:40
	global_load_dwordx2 v[8:9], v2, s[8:9]
	s_waitcnt vmcnt(1)
	v_and_b32_e32 v4, v4, v6
	v_and_b32_e32 v5, v5, v7
	v_mul_lo_u32 v5, v5, 24
	v_mul_hi_u32 v10, v4, 24
	v_mul_lo_u32 v4, v4, 24
	v_add_u32_e32 v5, v10, v5
	s_waitcnt vmcnt(0)
	v_add_co_u32_e32 v4, vcc, v8, v4
	v_addc_co_u32_e32 v5, vcc, v9, v5, vcc
	global_load_dwordx2 v[4:5], v[4:5], off glc
	s_waitcnt vmcnt(0)
	global_atomic_cmpswap_x2 v[8:9], v2, v[4:7], s[8:9] offset:24 glc
	s_waitcnt vmcnt(0)
	buffer_wbinvl1_vol
	v_cmp_ne_u64_e32 vcc, v[8:9], v[6:7]
	s_and_saveexec_b64 s[12:13], vcc
	s_cbranch_execz .LBB9_92
; %bb.89:
	s_mov_b64 s[14:15], 0
.LBB9_90:                               ; =>This Inner Loop Header: Depth=1
	s_sleep 1
	global_load_dwordx2 v[4:5], v2, s[8:9] offset:40
	global_load_dwordx2 v[10:11], v2, s[8:9]
	v_mov_b32_e32 v6, v8
	v_mov_b32_e32 v7, v9
	s_waitcnt vmcnt(1)
	v_and_b32_e32 v4, v4, v6
	s_waitcnt vmcnt(0)
	v_mad_u64_u32 v[8:9], s[16:17], v4, 24, v[10:11]
	v_and_b32_e32 v5, v5, v7
	v_mov_b32_e32 v4, v9
	v_mad_u64_u32 v[4:5], s[16:17], v5, 24, v[4:5]
	v_mov_b32_e32 v9, v4
	global_load_dwordx2 v[4:5], v[8:9], off glc
	s_waitcnt vmcnt(0)
	global_atomic_cmpswap_x2 v[8:9], v2, v[4:7], s[8:9] offset:24 glc
	s_waitcnt vmcnt(0)
	buffer_wbinvl1_vol
	v_cmp_eq_u64_e32 vcc, v[8:9], v[6:7]
	s_or_b64 s[14:15], vcc, s[14:15]
	s_andn2_b64 exec, exec, s[14:15]
	s_cbranch_execnz .LBB9_90
; %bb.91:
	s_or_b64 exec, exec, s[14:15]
.LBB9_92:
	s_or_b64 exec, exec, s[12:13]
.LBB9_93:
	s_or_b64 exec, exec, s[10:11]
	v_mov_b32_e32 v2, 0
	s_waitcnt lgkmcnt(0)
	global_load_dwordx2 v[10:11], v2, s[8:9] offset:40
	global_load_dwordx4 v[4:7], v2, s[8:9]
	v_readfirstlane_b32 s11, v9
	v_readfirstlane_b32 s10, v8
	s_mov_b64 s[12:13], exec
	s_waitcnt vmcnt(1)
	v_readfirstlane_b32 s14, v10
	v_readfirstlane_b32 s15, v11
	s_and_b64 s[14:15], s[14:15], s[10:11]
	s_mul_i32 s16, s15, 24
	s_mul_hi_u32 s17, s14, 24
	s_mul_i32 s18, s14, 24
	s_add_i32 s16, s17, s16
	v_mov_b32_e32 v9, s16
	s_waitcnt vmcnt(0)
	v_add_co_u32_e32 v8, vcc, s18, v4
	v_addc_co_u32_e32 v9, vcc, v5, v9, vcc
	s_and_saveexec_b64 s[16:17], s[4:5]
	s_cbranch_execz .LBB9_95
; %bb.94:
	v_mov_b32_e32 v10, s12
	v_mov_b32_e32 v11, s13
	;; [unrolled: 1-line block ×4, first 2 shown]
	global_store_dwordx4 v[8:9], v[10:13], off offset:8
.LBB9_95:
	s_or_b64 exec, exec, s[16:17]
	s_lshl_b64 s[12:13], s[14:15], 12
	v_mov_b32_e32 v10, s13
	v_add_co_u32_e32 v6, vcc, s12, v6
	v_addc_co_u32_e32 v7, vcc, v7, v10, vcc
	s_movk_i32 s12, 0xff1f
	v_and_or_b32 v0, v0, s12, 32
	v_lshlrev_b32_e32 v10, 6, v3
	s_mov_b32 s12, 0
	v_mov_b32_e32 v3, v2
	v_readfirstlane_b32 s16, v6
	v_readfirstlane_b32 s17, v7
	s_mov_b32 s13, s12
	s_mov_b32 s14, s12
	;; [unrolled: 1-line block ×3, first 2 shown]
	s_nop 1
	global_store_dwordx4 v10, v[0:3], s[16:17]
	s_nop 0
	v_mov_b32_e32 v0, s12
	v_mov_b32_e32 v1, s13
	;; [unrolled: 1-line block ×4, first 2 shown]
	global_store_dwordx4 v10, v[0:3], s[16:17] offset:16
	global_store_dwordx4 v10, v[0:3], s[16:17] offset:32
	;; [unrolled: 1-line block ×3, first 2 shown]
	s_and_saveexec_b64 s[12:13], s[4:5]
	s_cbranch_execz .LBB9_103
; %bb.96:
	v_mov_b32_e32 v6, 0
	global_load_dwordx2 v[12:13], v6, s[8:9] offset:32 glc
	global_load_dwordx2 v[0:1], v6, s[8:9] offset:40
	v_mov_b32_e32 v10, s10
	v_mov_b32_e32 v11, s11
	s_waitcnt vmcnt(0)
	v_and_b32_e32 v0, s10, v0
	v_and_b32_e32 v1, s11, v1
	v_mul_lo_u32 v1, v1, 24
	v_mul_hi_u32 v2, v0, 24
	v_mul_lo_u32 v0, v0, 24
	v_add_u32_e32 v1, v2, v1
	v_add_co_u32_e32 v4, vcc, v4, v0
	v_addc_co_u32_e32 v5, vcc, v5, v1, vcc
	global_store_dwordx2 v[4:5], v[12:13], off
	s_waitcnt vmcnt(0)
	global_atomic_cmpswap_x2 v[2:3], v6, v[10:13], s[8:9] offset:32 glc
	s_waitcnt vmcnt(0)
	v_cmp_ne_u64_e32 vcc, v[2:3], v[12:13]
	s_and_saveexec_b64 s[14:15], vcc
	s_cbranch_execz .LBB9_99
; %bb.97:
	s_mov_b64 s[16:17], 0
.LBB9_98:                               ; =>This Inner Loop Header: Depth=1
	s_sleep 1
	global_store_dwordx2 v[4:5], v[2:3], off
	v_mov_b32_e32 v0, s10
	v_mov_b32_e32 v1, s11
	s_waitcnt vmcnt(0)
	global_atomic_cmpswap_x2 v[0:1], v6, v[0:3], s[8:9] offset:32 glc
	s_waitcnt vmcnt(0)
	v_cmp_eq_u64_e32 vcc, v[0:1], v[2:3]
	v_mov_b32_e32 v3, v1
	s_or_b64 s[16:17], vcc, s[16:17]
	v_mov_b32_e32 v2, v0
	s_andn2_b64 exec, exec, s[16:17]
	s_cbranch_execnz .LBB9_98
.LBB9_99:
	s_or_b64 exec, exec, s[14:15]
	v_mov_b32_e32 v3, 0
	global_load_dwordx2 v[0:1], v3, s[8:9] offset:16
	s_mov_b64 s[14:15], exec
	v_mbcnt_lo_u32_b32 v2, s14, 0
	v_mbcnt_hi_u32_b32 v2, s15, v2
	v_cmp_eq_u32_e32 vcc, 0, v2
	s_and_saveexec_b64 s[16:17], vcc
	s_cbranch_execz .LBB9_101
; %bb.100:
	s_bcnt1_i32_b64 s14, s[14:15]
	v_mov_b32_e32 v2, s14
	s_waitcnt vmcnt(0)
	global_atomic_add_x2 v[0:1], v[2:3], off offset:8
.LBB9_101:
	s_or_b64 exec, exec, s[16:17]
	s_waitcnt vmcnt(0)
	global_load_dwordx2 v[2:3], v[0:1], off offset:16
	s_waitcnt vmcnt(0)
	v_cmp_eq_u64_e32 vcc, 0, v[2:3]
	s_cbranch_vccnz .LBB9_103
; %bb.102:
	global_load_dword v0, v[0:1], off offset:24
	v_mov_b32_e32 v1, 0
	s_waitcnt vmcnt(0)
	v_readfirstlane_b32 s14, v0
	s_and_b32 m0, s14, 0xffffff
	global_store_dwordx2 v[2:3], v[0:1], off
	s_sendmsg sendmsg(MSG_INTERRUPT)
.LBB9_103:
	s_or_b64 exec, exec, s[12:13]
	s_branch .LBB9_107
.LBB9_104:                              ;   in Loop: Header=BB9_107 Depth=1
	s_or_b64 exec, exec, s[12:13]
	v_readfirstlane_b32 s12, v0
	s_cmp_eq_u32 s12, 0
	s_cbranch_scc1 .LBB9_106
; %bb.105:                              ;   in Loop: Header=BB9_107 Depth=1
	s_sleep 1
	s_cbranch_execnz .LBB9_107
	s_branch .LBB9_110
.LBB9_106:
	s_branch .LBB9_110
.LBB9_107:                              ; =>This Inner Loop Header: Depth=1
	v_mov_b32_e32 v0, 1
	s_and_saveexec_b64 s[12:13], s[4:5]
	s_cbranch_execz .LBB9_104
; %bb.108:                              ;   in Loop: Header=BB9_107 Depth=1
	global_load_dword v0, v[8:9], off offset:20 glc
	s_waitcnt vmcnt(0)
	buffer_wbinvl1_vol
	v_and_b32_e32 v0, 1, v0
	s_branch .LBB9_104
.LBB9_109:
	s_or_b64 exec, exec, s[6:7]
	s_waitcnt vmcnt(0) lgkmcnt(0)
	s_setpc_b64 s[30:31]
.LBB9_110:
	s_and_saveexec_b64 s[12:13], s[4:5]
	s_cbranch_execz .LBB9_113
; %bb.111:
	v_mov_b32_e32 v6, 0
	global_load_dwordx2 v[0:1], v6, s[8:9] offset:40
	global_load_dwordx2 v[9:10], v6, s[8:9] offset:24 glc
	global_load_dwordx2 v[2:3], v6, s[8:9]
	s_waitcnt vmcnt(2)
	v_readfirstlane_b32 s14, v0
	v_readfirstlane_b32 s15, v1
	s_add_u32 s16, s14, 1
	s_addc_u32 s17, s15, 0
	s_add_u32 s4, s16, s10
	s_addc_u32 s5, s17, s11
	s_cmp_eq_u64 s[4:5], 0
	s_cselect_b32 s5, s17, s5
	s_cselect_b32 s4, s16, s4
	s_and_b64 s[10:11], s[4:5], s[14:15]
	s_mul_i32 s11, s11, 24
	s_mul_hi_u32 s14, s10, 24
	s_mul_i32 s10, s10, 24
	s_add_i32 s11, s14, s11
	v_mov_b32_e32 v0, s11
	s_waitcnt vmcnt(0)
	v_add_co_u32_e32 v4, vcc, s10, v2
	v_addc_co_u32_e32 v5, vcc, v3, v0, vcc
	v_mov_b32_e32 v7, s4
	global_store_dwordx2 v[4:5], v[9:10], off
	v_mov_b32_e32 v8, s5
	s_waitcnt vmcnt(0)
	global_atomic_cmpswap_x2 v[2:3], v6, v[7:10], s[8:9] offset:24 glc
	s_mov_b64 s[10:11], 0
	s_waitcnt vmcnt(0)
	v_cmp_ne_u64_e32 vcc, v[2:3], v[9:10]
	s_and_b64 exec, exec, vcc
	s_cbranch_execz .LBB9_113
.LBB9_112:                              ; =>This Inner Loop Header: Depth=1
	s_sleep 1
	global_store_dwordx2 v[4:5], v[2:3], off
	v_mov_b32_e32 v0, s4
	v_mov_b32_e32 v1, s5
	s_waitcnt vmcnt(0)
	global_atomic_cmpswap_x2 v[0:1], v6, v[0:3], s[8:9] offset:24 glc
	s_waitcnt vmcnt(0)
	v_cmp_eq_u64_e32 vcc, v[0:1], v[2:3]
	v_mov_b32_e32 v3, v1
	s_or_b64 s[10:11], vcc, s[10:11]
	v_mov_b32_e32 v2, v0
	s_andn2_b64 exec, exec, s[10:11]
	s_cbranch_execnz .LBB9_112
.LBB9_113:
	s_or_b64 exec, exec, s[12:13]
	s_or_b64 exec, exec, s[6:7]
	s_waitcnt vmcnt(0) lgkmcnt(0)
	s_setpc_b64 s[30:31]
.Lfunc_end9:
	.size	__ockl_fprintf_append_string_n, .Lfunc_end9-__ockl_fprintf_append_string_n
                                        ; -- End function
	.set .L__ockl_fprintf_append_string_n.num_vgpr, 37
	.set .L__ockl_fprintf_append_string_n.num_agpr, 0
	.set .L__ockl_fprintf_append_string_n.numbered_sgpr, 32
	.set .L__ockl_fprintf_append_string_n.num_named_barrier, 0
	.set .L__ockl_fprintf_append_string_n.private_seg_size, 0
	.set .L__ockl_fprintf_append_string_n.uses_vcc, 1
	.set .L__ockl_fprintf_append_string_n.uses_flat_scratch, 0
	.set .L__ockl_fprintf_append_string_n.has_dyn_sized_stack, 0
	.set .L__ockl_fprintf_append_string_n.has_recursion, 0
	.set .L__ockl_fprintf_append_string_n.has_indirect_call, 0
	.section	.AMDGPU.csdata,"",@progbits
; Function info:
; codeLenInByte = 3868
; TotalNumSgprs: 36
; NumVgprs: 37
; ScratchSize: 0
; MemoryBound: 0
	.text
	.p2align	2                               ; -- Begin function __assert_fail
	.type	__assert_fail,@function
__assert_fail:                          ; @__assert_fail
; %bb.0:
	s_waitcnt vmcnt(0) expcnt(0) lgkmcnt(0)
	s_mov_b32 s25, s33
	s_mov_b32 s33, s32
	s_or_saveexec_b64 s[4:5], -1
	buffer_store_dword v40, off, s[0:3], s33 offset:48 ; 4-byte Folded Spill
	s_mov_b64 exec, s[4:5]
	v_writelane_b32 v40, s30, 0
	s_addk_i32 s32, 0x1000
	v_writelane_b32 v40, s31, 1
	v_mov_b32_e32 v13, 0
	s_getpc_b64 s[4:5]
	s_add_u32 s4, s4, __const.__assert_fail.fmt@rel32@lo+35
	s_addc_u32 s5, s5, __const.__assert_fail.fmt@rel32@hi+43
	global_load_dwordx4 v[9:12], v13, s[4:5]
	s_getpc_b64 s[16:17]
	s_add_u32 s16, s16, __const.__assert_fail.fmt@rel32@lo+4
	s_addc_u32 s17, s17, __const.__assert_fail.fmt@rel32@hi+12
	s_getpc_b64 s[18:19]
	s_add_u32 s18, s18, __const.__assert_fail.fmt@rel32@lo+20
	s_addc_u32 s19, s19, __const.__assert_fail.fmt@rel32@hi+28
	v_mbcnt_lo_u32_b32 v14, -1, 0
	s_load_dwordx4 s[4:7], s[16:17], 0x0
	s_load_dwordx4 s[12:15], s[18:19], 0x0
	s_load_dwordx2 s[10:11], s[8:9], 0x50
	v_mbcnt_hi_u32_b32 v38, -1, v14
	v_mov_b32_e32 v8, v1
	v_mov_b32_e32 v7, v0
	v_mov_b32_e32 v0, 0
	v_readfirstlane_b32 s16, v38
	v_mov_b32_e32 v1, 0
	s_waitcnt lgkmcnt(0)
	v_mov_b32_e32 v14, s7
	v_mov_b32_e32 v16, s5
	;; [unrolled: 1-line block ×3, first 2 shown]
	v_cmp_eq_u32_e64 s[4:5], s16, v38
	v_mov_b32_e32 v15, s6
	v_mov_b32_e32 v18, s15
	;; [unrolled: 1-line block ×5, first 2 shown]
	buffer_store_dword v14, off, s[0:3], s33 offset:12
	buffer_store_dword v15, off, s[0:3], s33 offset:8
	;; [unrolled: 1-line block ×3, first 2 shown]
	buffer_store_dword v17, off, s[0:3], s33
	buffer_store_dword v18, off, s[0:3], s33 offset:28
	buffer_store_dword v19, off, s[0:3], s33 offset:24
	;; [unrolled: 1-line block ×4, first 2 shown]
	s_waitcnt vmcnt(8)
	buffer_store_dword v12, off, s[0:3], s33 offset:43
	buffer_store_dword v11, off, s[0:3], s33 offset:39
	;; [unrolled: 1-line block ×4, first 2 shown]
	s_and_saveexec_b64 s[6:7], s[4:5]
	s_cbranch_execz .LBB10_6
; %bb.1:
	global_load_dwordx2 v[11:12], v13, s[10:11] offset:24 glc
	s_waitcnt vmcnt(0)
	buffer_wbinvl1_vol
	global_load_dwordx2 v[0:1], v13, s[10:11] offset:40
	global_load_dwordx2 v[9:10], v13, s[10:11]
	s_waitcnt vmcnt(1)
	v_and_b32_e32 v0, v0, v11
	v_and_b32_e32 v1, v1, v12
	v_mul_lo_u32 v1, v1, 24
	v_mul_hi_u32 v14, v0, 24
	v_mul_lo_u32 v0, v0, 24
	v_add_u32_e32 v1, v14, v1
	s_waitcnt vmcnt(0)
	v_add_co_u32_e32 v0, vcc, v9, v0
	v_addc_co_u32_e32 v1, vcc, v10, v1, vcc
	global_load_dwordx2 v[9:10], v[0:1], off glc
	s_waitcnt vmcnt(0)
	global_atomic_cmpswap_x2 v[0:1], v13, v[9:12], s[10:11] offset:24 glc
	s_waitcnt vmcnt(0)
	buffer_wbinvl1_vol
	v_cmp_ne_u64_e32 vcc, v[0:1], v[11:12]
	s_and_saveexec_b64 s[12:13], vcc
	s_cbranch_execz .LBB10_5
; %bb.2:
	s_mov_b64 s[14:15], 0
	v_mov_b32_e32 v9, 0
.LBB10_3:                               ; =>This Inner Loop Header: Depth=1
	s_sleep 1
	global_load_dwordx2 v[10:11], v9, s[10:11] offset:40
	global_load_dwordx2 v[14:15], v9, s[10:11]
	v_mov_b32_e32 v17, v1
	v_mov_b32_e32 v16, v0
	s_waitcnt vmcnt(1)
	v_and_b32_e32 v0, v10, v16
	s_waitcnt vmcnt(0)
	v_mad_u64_u32 v[0:1], s[16:17], v0, 24, v[14:15]
	v_and_b32_e32 v10, v11, v17
	v_mad_u64_u32 v[10:11], s[16:17], v10, 24, v[1:2]
	v_mov_b32_e32 v1, v10
	global_load_dwordx2 v[14:15], v[0:1], off glc
	s_waitcnt vmcnt(0)
	global_atomic_cmpswap_x2 v[0:1], v9, v[14:17], s[10:11] offset:24 glc
	s_waitcnt vmcnt(0)
	buffer_wbinvl1_vol
	v_cmp_eq_u64_e32 vcc, v[0:1], v[16:17]
	s_or_b64 s[14:15], vcc, s[14:15]
	s_andn2_b64 exec, exec, s[14:15]
	s_cbranch_execnz .LBB10_3
; %bb.4:
	s_or_b64 exec, exec, s[14:15]
.LBB10_5:
	s_or_b64 exec, exec, s[12:13]
.LBB10_6:
	s_or_b64 exec, exec, s[6:7]
	global_load_dwordx2 v[14:15], v13, s[10:11] offset:40
	global_load_dwordx4 v[9:12], v13, s[10:11]
	v_readfirstlane_b32 s7, v1
	v_readfirstlane_b32 s6, v0
	s_mov_b64 s[12:13], exec
	s_waitcnt vmcnt(1)
	v_readfirstlane_b32 s14, v14
	v_readfirstlane_b32 s15, v15
	s_and_b64 s[14:15], s[14:15], s[6:7]
	s_mul_i32 s16, s15, 24
	s_mul_hi_u32 s17, s14, 24
	s_mul_i32 s18, s14, 24
	s_add_i32 s16, s17, s16
	v_mov_b32_e32 v1, s16
	s_waitcnt vmcnt(0)
	v_add_co_u32_e32 v0, vcc, s18, v9
	v_addc_co_u32_e32 v1, vcc, v10, v1, vcc
	s_and_saveexec_b64 s[16:17], s[4:5]
	s_cbranch_execz .LBB10_8
; %bb.7:
	v_mov_b32_e32 v14, s13
	v_mov_b32_e32 v13, s12
	v_mov_b32_e32 v15, 2
	v_mov_b32_e32 v16, 1
	global_store_dwordx4 v[0:1], v[13:16], off offset:8
.LBB10_8:
	s_or_b64 exec, exec, s[16:17]
	s_lshl_b64 s[12:13], s[14:15], 12
	v_mov_b32_e32 v13, s13
	v_add_co_u32_e32 v17, vcc, s12, v11
	v_addc_co_u32_e32 v18, vcc, v12, v13, vcc
	v_lshlrev_b32_e32 v39, 6, v38
	s_mov_b32 s12, 0
	v_add_co_u32_e32 v15, vcc, v17, v39
	s_mov_b32 s15, s12
	v_mov_b32_e32 v12, 0
	v_addc_co_u32_e32 v16, vcc, 0, v18, vcc
	v_readfirstlane_b32 s16, v17
	v_readfirstlane_b32 s17, v18
	s_mov_b32 s13, s12
	s_mov_b32 s14, s12
	v_mov_b32_e32 v20, s15
	v_mov_b32_e32 v11, 33
	;; [unrolled: 1-line block ×7, first 2 shown]
	global_store_dwordx4 v39, v[11:14], s[16:17]
	global_store_dwordx4 v39, v[17:20], s[16:17] offset:16
	global_store_dwordx4 v39, v[17:20], s[16:17] offset:32
	;; [unrolled: 1-line block ×3, first 2 shown]
	s_and_saveexec_b64 s[12:13], s[4:5]
	s_cbranch_execz .LBB10_16
; %bb.9:
	global_load_dwordx2 v[19:20], v12, s[10:11] offset:32 glc
	global_load_dwordx2 v[13:14], v12, s[10:11] offset:40
	v_mov_b32_e32 v17, s6
	v_mov_b32_e32 v18, s7
	s_waitcnt vmcnt(0)
	v_and_b32_e32 v11, s6, v13
	v_and_b32_e32 v13, s7, v14
	v_mul_lo_u32 v13, v13, 24
	v_mul_hi_u32 v14, v11, 24
	v_mul_lo_u32 v11, v11, 24
	v_add_u32_e32 v14, v14, v13
	v_add_co_u32_e32 v13, vcc, v9, v11
	v_addc_co_u32_e32 v14, vcc, v10, v14, vcc
	global_store_dwordx2 v[13:14], v[19:20], off
	s_waitcnt vmcnt(0)
	global_atomic_cmpswap_x2 v[11:12], v12, v[17:20], s[10:11] offset:32 glc
	s_waitcnt vmcnt(0)
	v_cmp_ne_u64_e32 vcc, v[11:12], v[19:20]
	s_and_saveexec_b64 s[14:15], vcc
	s_cbranch_execz .LBB10_12
; %bb.10:
	s_mov_b64 s[16:17], 0
	v_mov_b32_e32 v17, 0
.LBB10_11:                              ; =>This Inner Loop Header: Depth=1
	s_sleep 1
	global_store_dwordx2 v[13:14], v[11:12], off
	v_mov_b32_e32 v9, s6
	v_mov_b32_e32 v10, s7
	s_waitcnt vmcnt(0)
	global_atomic_cmpswap_x2 v[9:10], v17, v[9:12], s[10:11] offset:32 glc
	s_waitcnt vmcnt(0)
	v_cmp_eq_u64_e32 vcc, v[9:10], v[11:12]
	v_mov_b32_e32 v12, v10
	s_or_b64 s[16:17], vcc, s[16:17]
	v_mov_b32_e32 v11, v9
	s_andn2_b64 exec, exec, s[16:17]
	s_cbranch_execnz .LBB10_11
.LBB10_12:
	s_or_b64 exec, exec, s[14:15]
	v_mov_b32_e32 v12, 0
	global_load_dwordx2 v[9:10], v12, s[10:11] offset:16
	s_mov_b64 s[14:15], exec
	v_mbcnt_lo_u32_b32 v11, s14, 0
	v_mbcnt_hi_u32_b32 v11, s15, v11
	v_cmp_eq_u32_e32 vcc, 0, v11
	s_and_saveexec_b64 s[16:17], vcc
	s_cbranch_execz .LBB10_14
; %bb.13:
	s_bcnt1_i32_b64 s14, s[14:15]
	v_mov_b32_e32 v11, s14
	s_waitcnt vmcnt(0)
	global_atomic_add_x2 v[9:10], v[11:12], off offset:8
.LBB10_14:
	s_or_b64 exec, exec, s[16:17]
	s_waitcnt vmcnt(0)
	global_load_dwordx2 v[11:12], v[9:10], off offset:16
	s_waitcnt vmcnt(0)
	v_cmp_eq_u64_e32 vcc, 0, v[11:12]
	s_cbranch_vccnz .LBB10_16
; %bb.15:
	global_load_dword v9, v[9:10], off offset:24
	v_mov_b32_e32 v10, 0
	s_waitcnt vmcnt(0)
	v_readfirstlane_b32 s14, v9
	s_and_b32 m0, s14, 0xffffff
	global_store_dwordx2 v[11:12], v[9:10], off
	s_sendmsg sendmsg(MSG_INTERRUPT)
.LBB10_16:
	s_or_b64 exec, exec, s[12:13]
	s_branch .LBB10_20
.LBB10_17:                              ;   in Loop: Header=BB10_20 Depth=1
	s_or_b64 exec, exec, s[12:13]
	v_readfirstlane_b32 s12, v9
	s_cmp_eq_u32 s12, 0
	s_cbranch_scc1 .LBB10_19
; %bb.18:                               ;   in Loop: Header=BB10_20 Depth=1
	s_sleep 1
	s_cbranch_execnz .LBB10_20
	s_branch .LBB10_22
.LBB10_19:
	s_branch .LBB10_22
.LBB10_20:                              ; =>This Inner Loop Header: Depth=1
	v_mov_b32_e32 v9, 1
	s_and_saveexec_b64 s[12:13], s[4:5]
	s_cbranch_execz .LBB10_17
; %bb.21:                               ;   in Loop: Header=BB10_20 Depth=1
	global_load_dword v9, v[0:1], off offset:20 glc
	s_waitcnt vmcnt(0)
	buffer_wbinvl1_vol
	v_and_b32_e32 v9, 1, v9
	s_branch .LBB10_17
.LBB10_22:
	global_load_dwordx2 v[13:14], v[15:16], off
	s_and_saveexec_b64 s[12:13], s[4:5]
	s_cbranch_execz .LBB10_25
; %bb.23:
	v_mov_b32_e32 v15, 0
	global_load_dwordx2 v[0:1], v15, s[10:11] offset:40
	global_load_dwordx2 v[18:19], v15, s[10:11] offset:24 glc
	global_load_dwordx2 v[9:10], v15, s[10:11]
	s_waitcnt vmcnt(2)
	v_readfirstlane_b32 s14, v0
	v_readfirstlane_b32 s15, v1
	s_add_u32 s16, s14, 1
	s_addc_u32 s17, s15, 0
	s_add_u32 s4, s16, s6
	s_addc_u32 s5, s17, s7
	s_cmp_eq_u64 s[4:5], 0
	s_cselect_b32 s5, s17, s5
	s_cselect_b32 s4, s16, s4
	s_and_b64 s[6:7], s[4:5], s[14:15]
	s_mul_i32 s7, s7, 24
	s_mul_hi_u32 s14, s6, 24
	s_mul_i32 s6, s6, 24
	s_add_i32 s7, s14, s7
	v_mov_b32_e32 v1, s7
	s_waitcnt vmcnt(0)
	v_add_co_u32_e32 v0, vcc, s6, v9
	v_addc_co_u32_e32 v1, vcc, v10, v1, vcc
	v_mov_b32_e32 v16, s4
	global_store_dwordx2 v[0:1], v[18:19], off
	v_mov_b32_e32 v17, s5
	s_waitcnt vmcnt(0)
	global_atomic_cmpswap_x2 v[11:12], v15, v[16:19], s[10:11] offset:24 glc
	s_mov_b64 s[6:7], 0
	s_waitcnt vmcnt(0)
	v_cmp_ne_u64_e32 vcc, v[11:12], v[18:19]
	s_and_b64 exec, exec, vcc
	s_cbranch_execz .LBB10_25
.LBB10_24:                              ; =>This Inner Loop Header: Depth=1
	s_sleep 1
	global_store_dwordx2 v[0:1], v[11:12], off
	v_mov_b32_e32 v9, s4
	v_mov_b32_e32 v10, s5
	s_waitcnt vmcnt(0)
	global_atomic_cmpswap_x2 v[9:10], v15, v[9:12], s[10:11] offset:24 glc
	s_waitcnt vmcnt(0)
	v_cmp_eq_u64_e32 vcc, v[9:10], v[11:12]
	v_mov_b32_e32 v12, v10
	s_or_b64 s[6:7], vcc, s[6:7]
	v_mov_b32_e32 v11, v9
	s_andn2_b64 exec, exec, s[6:7]
	s_cbranch_execnz .LBB10_24
.LBB10_25:
	s_or_b64 exec, exec, s[12:13]
	s_lshr_b32 s6, s33, 6
	s_mov_b64 s[4:5], 0
.LBB10_26:                              ; =>This Inner Loop Header: Depth=1
	v_mov_b32_e32 v0, s6
	buffer_load_ubyte v1, v0, s[0:3], 0 offen
	s_add_i32 s6, s6, 1
	v_mov_b32_e32 v0, s6
	s_waitcnt vmcnt(0)
	v_cmp_eq_u16_e32 vcc, 0, v1
	s_or_b64 s[4:5], vcc, s[4:5]
	s_andn2_b64 exec, exec, s[4:5]
	s_cbranch_execnz .LBB10_26
; %bb.27:
	s_or_b64 exec, exec, s[4:5]
	s_lshr_b32 s4, s33, 6
	s_cmp_lg_u32 s4, -1
	s_cbranch_scc0 .LBB10_112
; %bb.28:
	v_lshrrev_b32_e64 v1, 6, s33
	v_subrev_u32_e32 v0, v1, v0
	v_ashrrev_i32_e32 v1, 31, v0
	v_and_b32_e32 v48, 2, v13
	v_mov_b32_e32 v35, 0
	v_and_b32_e32 v9, -3, v13
	v_mov_b32_e32 v10, v14
	s_mov_b64 s[12:13], 0
	v_lshrrev_b32_e64 v49, 6, s33
	s_mov_b32 s20, 0
	s_movk_i32 s21, 0x1e0
	v_mov_b32_e32 v17, 2
	v_mov_b32_e32 v18, 1
	s_branch .LBB10_30
.LBB10_29:                              ;   in Loop: Header=BB10_30 Depth=1
	s_or_b64 exec, exec, s[14:15]
	v_sub_co_u32_e32 v0, vcc, v0, v50
	v_subb_co_u32_e32 v1, vcc, v1, v51, vcc
	v_cmp_eq_u64_e32 vcc, 0, v[0:1]
	v_add_u32_e32 v49, v49, v50
	s_or_b64 s[12:13], vcc, s[12:13]
	s_andn2_b64 exec, exec, s[12:13]
	s_cbranch_execz .LBB10_113
.LBB10_30:                              ; =>This Loop Header: Depth=1
                                        ;     Child Loop BB10_33 Depth 2
                                        ;     Child Loop BB10_41 Depth 2
	;; [unrolled: 1-line block ×11, first 2 shown]
	v_cmp_gt_u64_e32 vcc, 56, v[0:1]
	v_cmp_gt_u64_e64 s[4:5], 8, v[0:1]
	v_cndmask_b32_e32 v50, 56, v0, vcc
	v_add_u32_e32 v16, 8, v49
	s_and_saveexec_b64 s[6:7], s[4:5]
	s_xor_b64 s[6:7], exec, s[6:7]
	s_cbranch_execz .LBB10_36
; %bb.31:                               ;   in Loop: Header=BB10_30 Depth=1
	v_mov_b32_e32 v11, 0
	v_cmp_ne_u64_e64 s[4:5], 0, v[0:1]
	v_mov_b32_e32 v12, 0
	s_and_saveexec_b64 s[14:15], s[4:5]
	s_cbranch_execz .LBB10_35
; %bb.32:                               ;   in Loop: Header=BB10_30 Depth=1
	v_mov_b32_e32 v11, 0
	s_mov_b32 s22, 0
	s_mov_b64 s[16:17], 0
	v_mov_b32_e32 v12, 0
	s_mov_b64 s[18:19], 0
.LBB10_33:                              ;   Parent Loop BB10_30 Depth=1
                                        ; =>  This Inner Loop Header: Depth=2
	v_add_u32_e32 v15, s22, v49
	buffer_load_ubyte v15, v15, s[0:3], 0 offen
	v_mov_b32_e32 v16, s20
	s_add_i32 s22, s22, 1
	v_cmp_eq_u32_e64 s[4:5], s22, v50
	s_waitcnt vmcnt(0)
	v_and_b32_e32 v15, 0xffff, v15
	v_lshlrev_b64 v[15:16], s18, v[15:16]
	s_add_u32 s18, s18, 8
	s_addc_u32 s19, s19, 0
	v_or_b32_e32 v12, v16, v12
	s_or_b64 s[16:17], s[4:5], s[16:17]
	v_or_b32_e32 v11, v15, v11
	s_andn2_b64 exec, exec, s[16:17]
	s_cbranch_execnz .LBB10_33
; %bb.34:                               ;   in Loop: Header=BB10_30 Depth=1
	s_or_b64 exec, exec, s[16:17]
.LBB10_35:                              ;   in Loop: Header=BB10_30 Depth=1
	s_or_b64 exec, exec, s[14:15]
	v_mov_b32_e32 v16, v49
.LBB10_36:                              ;   in Loop: Header=BB10_30 Depth=1
	s_or_saveexec_b64 s[4:5], s[6:7]
	v_mov_b32_e32 v21, 0
	s_xor_b64 exec, exec, s[4:5]
	s_cbranch_execz .LBB10_38
; %bb.37:                               ;   in Loop: Header=BB10_30 Depth=1
	buffer_load_dword v11, v49, s[0:3], 0 offen
	buffer_load_dword v12, v49, s[0:3], 0 offen offset:4
	v_add_u32_e32 v21, -8, v50
.LBB10_38:                              ;   in Loop: Header=BB10_30 Depth=1
	s_or_b64 exec, exec, s[4:5]
	v_cmp_gt_u32_e64 s[4:5], 8, v21
	v_add_u32_e32 v15, 8, v16
                                        ; implicit-def: $vgpr19_vgpr20
	s_and_saveexec_b64 s[6:7], s[4:5]
	s_xor_b64 s[6:7], exec, s[6:7]
	s_cbranch_execz .LBB10_44
; %bb.39:                               ;   in Loop: Header=BB10_30 Depth=1
	v_mov_b32_e32 v19, 0
	v_mov_b32_e32 v20, 0
	v_cmp_ne_u32_e64 s[4:5], 0, v21
	s_and_saveexec_b64 s[14:15], s[4:5]
	s_cbranch_execz .LBB10_43
; %bb.40:                               ;   in Loop: Header=BB10_30 Depth=1
	v_mov_b32_e32 v19, 0
	s_mov_b32 s22, 0
	s_mov_b64 s[16:17], 0
	v_mov_b32_e32 v20, 0
	s_mov_b64 s[18:19], 0
.LBB10_41:                              ;   Parent Loop BB10_30 Depth=1
                                        ; =>  This Inner Loop Header: Depth=2
	v_add_u32_e32 v15, s22, v16
	buffer_load_ubyte v15, v15, s[0:3], 0 offen
	v_mov_b32_e32 v23, s20
	s_add_i32 s22, s22, 1
	v_cmp_eq_u32_e64 s[4:5], s22, v21
	s_waitcnt vmcnt(0)
	v_and_b32_e32 v22, 0xffff, v15
	v_lshlrev_b64 v[22:23], s18, v[22:23]
	s_add_u32 s18, s18, 8
	s_addc_u32 s19, s19, 0
	v_or_b32_e32 v20, v23, v20
	s_or_b64 s[16:17], s[4:5], s[16:17]
	v_or_b32_e32 v19, v22, v19
	s_andn2_b64 exec, exec, s[16:17]
	s_cbranch_execnz .LBB10_41
; %bb.42:                               ;   in Loop: Header=BB10_30 Depth=1
	s_or_b64 exec, exec, s[16:17]
.LBB10_43:                              ;   in Loop: Header=BB10_30 Depth=1
	s_or_b64 exec, exec, s[14:15]
	v_mov_b32_e32 v15, v16
                                        ; implicit-def: $vgpr21
.LBB10_44:                              ;   in Loop: Header=BB10_30 Depth=1
	s_or_saveexec_b64 s[4:5], s[6:7]
	v_mov_b32_e32 v23, 0
	s_xor_b64 exec, exec, s[4:5]
	s_cbranch_execz .LBB10_46
; %bb.45:                               ;   in Loop: Header=BB10_30 Depth=1
	buffer_load_dword v19, v16, s[0:3], 0 offen
	buffer_load_dword v20, v16, s[0:3], 0 offen offset:4
	v_add_u32_e32 v23, -8, v21
.LBB10_46:                              ;   in Loop: Header=BB10_30 Depth=1
	s_or_b64 exec, exec, s[4:5]
	v_cmp_gt_u32_e64 s[4:5], 8, v23
	v_add_u32_e32 v16, 8, v15
	s_and_saveexec_b64 s[6:7], s[4:5]
	s_xor_b64 s[6:7], exec, s[6:7]
	s_cbranch_execz .LBB10_52
; %bb.47:                               ;   in Loop: Header=BB10_30 Depth=1
	v_mov_b32_e32 v21, 0
	v_mov_b32_e32 v22, 0
	v_cmp_ne_u32_e64 s[4:5], 0, v23
	s_and_saveexec_b64 s[14:15], s[4:5]
	s_cbranch_execz .LBB10_51
; %bb.48:                               ;   in Loop: Header=BB10_30 Depth=1
	v_mov_b32_e32 v21, 0
	s_mov_b32 s22, 0
	s_mov_b64 s[16:17], 0
	v_mov_b32_e32 v22, 0
	s_mov_b64 s[18:19], 0
.LBB10_49:                              ;   Parent Loop BB10_30 Depth=1
                                        ; =>  This Inner Loop Header: Depth=2
	v_add_u32_e32 v16, s22, v15
	buffer_load_ubyte v16, v16, s[0:3], 0 offen
	v_mov_b32_e32 v25, s20
	s_add_i32 s22, s22, 1
	v_cmp_eq_u32_e64 s[4:5], s22, v23
	s_waitcnt vmcnt(0)
	v_and_b32_e32 v24, 0xffff, v16
	v_lshlrev_b64 v[24:25], s18, v[24:25]
	s_add_u32 s18, s18, 8
	s_addc_u32 s19, s19, 0
	v_or_b32_e32 v22, v25, v22
	s_or_b64 s[16:17], s[4:5], s[16:17]
	v_or_b32_e32 v21, v24, v21
	s_andn2_b64 exec, exec, s[16:17]
	s_cbranch_execnz .LBB10_49
; %bb.50:                               ;   in Loop: Header=BB10_30 Depth=1
	s_or_b64 exec, exec, s[16:17]
.LBB10_51:                              ;   in Loop: Header=BB10_30 Depth=1
	s_or_b64 exec, exec, s[14:15]
	v_mov_b32_e32 v16, v15
                                        ; implicit-def: $vgpr23
.LBB10_52:                              ;   in Loop: Header=BB10_30 Depth=1
	s_or_saveexec_b64 s[4:5], s[6:7]
	v_mov_b32_e32 v25, 0
	s_xor_b64 exec, exec, s[4:5]
	s_cbranch_execz .LBB10_54
; %bb.53:                               ;   in Loop: Header=BB10_30 Depth=1
	buffer_load_dword v21, v15, s[0:3], 0 offen
	buffer_load_dword v22, v15, s[0:3], 0 offen offset:4
	v_add_u32_e32 v25, -8, v23
.LBB10_54:                              ;   in Loop: Header=BB10_30 Depth=1
	s_or_b64 exec, exec, s[4:5]
	v_cmp_gt_u32_e64 s[4:5], 8, v25
	v_add_u32_e32 v15, 8, v16
                                        ; implicit-def: $vgpr23_vgpr24
	s_and_saveexec_b64 s[6:7], s[4:5]
	s_xor_b64 s[6:7], exec, s[6:7]
	s_cbranch_execz .LBB10_60
; %bb.55:                               ;   in Loop: Header=BB10_30 Depth=1
	v_mov_b32_e32 v23, 0
	v_mov_b32_e32 v24, 0
	v_cmp_ne_u32_e64 s[4:5], 0, v25
	s_and_saveexec_b64 s[14:15], s[4:5]
	s_cbranch_execz .LBB10_59
; %bb.56:                               ;   in Loop: Header=BB10_30 Depth=1
	v_mov_b32_e32 v23, 0
	s_mov_b32 s22, 0
	s_mov_b64 s[16:17], 0
	v_mov_b32_e32 v24, 0
	s_mov_b64 s[18:19], 0
.LBB10_57:                              ;   Parent Loop BB10_30 Depth=1
                                        ; =>  This Inner Loop Header: Depth=2
	v_add_u32_e32 v15, s22, v16
	buffer_load_ubyte v15, v15, s[0:3], 0 offen
	v_mov_b32_e32 v27, s20
	s_add_i32 s22, s22, 1
	v_cmp_eq_u32_e64 s[4:5], s22, v25
	s_waitcnt vmcnt(0)
	v_and_b32_e32 v26, 0xffff, v15
	v_lshlrev_b64 v[26:27], s18, v[26:27]
	s_add_u32 s18, s18, 8
	s_addc_u32 s19, s19, 0
	v_or_b32_e32 v24, v27, v24
	s_or_b64 s[16:17], s[4:5], s[16:17]
	v_or_b32_e32 v23, v26, v23
	s_andn2_b64 exec, exec, s[16:17]
	s_cbranch_execnz .LBB10_57
; %bb.58:                               ;   in Loop: Header=BB10_30 Depth=1
	s_or_b64 exec, exec, s[16:17]
.LBB10_59:                              ;   in Loop: Header=BB10_30 Depth=1
	s_or_b64 exec, exec, s[14:15]
	v_mov_b32_e32 v15, v16
                                        ; implicit-def: $vgpr25
.LBB10_60:                              ;   in Loop: Header=BB10_30 Depth=1
	s_or_saveexec_b64 s[4:5], s[6:7]
	v_mov_b32_e32 v27, 0
	s_xor_b64 exec, exec, s[4:5]
	s_cbranch_execz .LBB10_62
; %bb.61:                               ;   in Loop: Header=BB10_30 Depth=1
	buffer_load_dword v23, v16, s[0:3], 0 offen
	buffer_load_dword v24, v16, s[0:3], 0 offen offset:4
	v_add_u32_e32 v27, -8, v25
.LBB10_62:                              ;   in Loop: Header=BB10_30 Depth=1
	s_or_b64 exec, exec, s[4:5]
	v_cmp_gt_u32_e64 s[4:5], 8, v27
	v_add_u32_e32 v16, 8, v15
	s_and_saveexec_b64 s[6:7], s[4:5]
	s_xor_b64 s[6:7], exec, s[6:7]
	s_cbranch_execz .LBB10_68
; %bb.63:                               ;   in Loop: Header=BB10_30 Depth=1
	v_mov_b32_e32 v25, 0
	v_mov_b32_e32 v26, 0
	v_cmp_ne_u32_e64 s[4:5], 0, v27
	s_and_saveexec_b64 s[14:15], s[4:5]
	s_cbranch_execz .LBB10_67
; %bb.64:                               ;   in Loop: Header=BB10_30 Depth=1
	v_mov_b32_e32 v25, 0
	s_mov_b32 s22, 0
	s_mov_b64 s[16:17], 0
	v_mov_b32_e32 v26, 0
	s_mov_b64 s[18:19], 0
.LBB10_65:                              ;   Parent Loop BB10_30 Depth=1
                                        ; =>  This Inner Loop Header: Depth=2
	v_add_u32_e32 v16, s22, v15
	buffer_load_ubyte v16, v16, s[0:3], 0 offen
	v_mov_b32_e32 v29, s20
	s_add_i32 s22, s22, 1
	v_cmp_eq_u32_e64 s[4:5], s22, v27
	s_waitcnt vmcnt(0)
	v_and_b32_e32 v28, 0xffff, v16
	v_lshlrev_b64 v[28:29], s18, v[28:29]
	s_add_u32 s18, s18, 8
	s_addc_u32 s19, s19, 0
	v_or_b32_e32 v26, v29, v26
	s_or_b64 s[16:17], s[4:5], s[16:17]
	v_or_b32_e32 v25, v28, v25
	s_andn2_b64 exec, exec, s[16:17]
	s_cbranch_execnz .LBB10_65
; %bb.66:                               ;   in Loop: Header=BB10_30 Depth=1
	s_or_b64 exec, exec, s[16:17]
.LBB10_67:                              ;   in Loop: Header=BB10_30 Depth=1
	s_or_b64 exec, exec, s[14:15]
	v_mov_b32_e32 v16, v15
                                        ; implicit-def: $vgpr27
.LBB10_68:                              ;   in Loop: Header=BB10_30 Depth=1
	s_or_saveexec_b64 s[4:5], s[6:7]
	v_mov_b32_e32 v29, 0
	s_xor_b64 exec, exec, s[4:5]
	s_cbranch_execz .LBB10_70
; %bb.69:                               ;   in Loop: Header=BB10_30 Depth=1
	buffer_load_dword v25, v15, s[0:3], 0 offen
	buffer_load_dword v26, v15, s[0:3], 0 offen offset:4
	v_add_u32_e32 v29, -8, v27
.LBB10_70:                              ;   in Loop: Header=BB10_30 Depth=1
	s_or_b64 exec, exec, s[4:5]
	v_cmp_gt_u32_e64 s[4:5], 8, v29
	v_add_u32_e32 v15, 8, v16
                                        ; implicit-def: $vgpr27_vgpr28
	s_and_saveexec_b64 s[6:7], s[4:5]
	s_xor_b64 s[6:7], exec, s[6:7]
	s_cbranch_execz .LBB10_76
; %bb.71:                               ;   in Loop: Header=BB10_30 Depth=1
	v_mov_b32_e32 v27, 0
	v_mov_b32_e32 v28, 0
	v_cmp_ne_u32_e64 s[4:5], 0, v29
	s_and_saveexec_b64 s[14:15], s[4:5]
	s_cbranch_execz .LBB10_75
; %bb.72:                               ;   in Loop: Header=BB10_30 Depth=1
	v_mov_b32_e32 v27, 0
	s_mov_b32 s22, 0
	s_mov_b64 s[16:17], 0
	v_mov_b32_e32 v28, 0
	s_mov_b64 s[18:19], 0
.LBB10_73:                              ;   Parent Loop BB10_30 Depth=1
                                        ; =>  This Inner Loop Header: Depth=2
	v_add_u32_e32 v15, s22, v16
	buffer_load_ubyte v15, v15, s[0:3], 0 offen
	v_mov_b32_e32 v31, s20
	s_add_i32 s22, s22, 1
	v_cmp_eq_u32_e64 s[4:5], s22, v29
	s_waitcnt vmcnt(0)
	v_and_b32_e32 v30, 0xffff, v15
	v_lshlrev_b64 v[30:31], s18, v[30:31]
	s_add_u32 s18, s18, 8
	s_addc_u32 s19, s19, 0
	v_or_b32_e32 v28, v31, v28
	s_or_b64 s[16:17], s[4:5], s[16:17]
	v_or_b32_e32 v27, v30, v27
	s_andn2_b64 exec, exec, s[16:17]
	s_cbranch_execnz .LBB10_73
; %bb.74:                               ;   in Loop: Header=BB10_30 Depth=1
	s_or_b64 exec, exec, s[16:17]
.LBB10_75:                              ;   in Loop: Header=BB10_30 Depth=1
	s_or_b64 exec, exec, s[14:15]
	v_mov_b32_e32 v15, v16
                                        ; implicit-def: $vgpr29
.LBB10_76:                              ;   in Loop: Header=BB10_30 Depth=1
	s_or_saveexec_b64 s[4:5], s[6:7]
	v_mov_b32_e32 v31, 0
	s_xor_b64 exec, exec, s[4:5]
	s_cbranch_execz .LBB10_78
; %bb.77:                               ;   in Loop: Header=BB10_30 Depth=1
	buffer_load_dword v27, v16, s[0:3], 0 offen
	buffer_load_dword v28, v16, s[0:3], 0 offen offset:4
	v_add_u32_e32 v31, -8, v29
.LBB10_78:                              ;   in Loop: Header=BB10_30 Depth=1
	s_or_b64 exec, exec, s[4:5]
	v_cmp_gt_u32_e64 s[4:5], 8, v31
	s_and_saveexec_b64 s[6:7], s[4:5]
	s_xor_b64 s[6:7], exec, s[6:7]
	s_cbranch_execz .LBB10_84
; %bb.79:                               ;   in Loop: Header=BB10_30 Depth=1
	v_mov_b32_e32 v29, 0
	v_mov_b32_e32 v30, 0
	v_cmp_ne_u32_e64 s[4:5], 0, v31
	s_and_saveexec_b64 s[14:15], s[4:5]
	s_cbranch_execz .LBB10_83
; %bb.80:                               ;   in Loop: Header=BB10_30 Depth=1
	v_mov_b32_e32 v29, 0
	s_mov_b64 s[16:17], 0
	v_mov_b32_e32 v30, 0
	s_mov_b64 s[18:19], 0
.LBB10_81:                              ;   Parent Loop BB10_30 Depth=1
                                        ; =>  This Inner Loop Header: Depth=2
	buffer_load_ubyte v16, v15, s[0:3], 0 offen
	v_mov_b32_e32 v33, s20
	v_add_u32_e32 v31, -1, v31
	v_cmp_eq_u32_e64 s[4:5], 0, v31
	v_add_u32_e32 v15, 1, v15
	s_waitcnt vmcnt(0)
	v_and_b32_e32 v32, 0xffff, v16
	v_lshlrev_b64 v[32:33], s18, v[32:33]
	s_add_u32 s18, s18, 8
	s_addc_u32 s19, s19, 0
	v_or_b32_e32 v30, v33, v30
	s_or_b64 s[16:17], s[4:5], s[16:17]
	v_or_b32_e32 v29, v32, v29
	s_andn2_b64 exec, exec, s[16:17]
	s_cbranch_execnz .LBB10_81
; %bb.82:                               ;   in Loop: Header=BB10_30 Depth=1
	s_or_b64 exec, exec, s[16:17]
.LBB10_83:                              ;   in Loop: Header=BB10_30 Depth=1
	s_or_b64 exec, exec, s[14:15]
                                        ; implicit-def: $vgpr15
.LBB10_84:                              ;   in Loop: Header=BB10_30 Depth=1
	s_andn2_saveexec_b64 s[4:5], s[6:7]
	s_cbranch_execz .LBB10_86
; %bb.85:                               ;   in Loop: Header=BB10_30 Depth=1
	buffer_load_dword v29, v15, s[0:3], 0 offen
	buffer_load_dword v30, v15, s[0:3], 0 offen offset:4
.LBB10_86:                              ;   in Loop: Header=BB10_30 Depth=1
	s_or_b64 exec, exec, s[4:5]
	v_readfirstlane_b32 s4, v38
	v_mov_b32_e32 v15, 0
	v_mov_b32_e32 v16, 0
	v_cmp_eq_u32_e64 s[4:5], s4, v38
	s_and_saveexec_b64 s[14:15], s[4:5]
	s_cbranch_execz .LBB10_92
; %bb.87:                               ;   in Loop: Header=BB10_30 Depth=1
	global_load_dwordx2 v[33:34], v35, s[10:11] offset:24 glc
	s_waitcnt vmcnt(0)
	buffer_wbinvl1_vol
	global_load_dwordx2 v[15:16], v35, s[10:11] offset:40
	global_load_dwordx2 v[31:32], v35, s[10:11]
	s_waitcnt vmcnt(1)
	v_and_b32_e32 v15, v15, v33
	v_and_b32_e32 v16, v16, v34
	v_mul_lo_u32 v16, v16, 24
	v_mul_hi_u32 v36, v15, 24
	v_mul_lo_u32 v15, v15, 24
	v_add_u32_e32 v16, v36, v16
	s_waitcnt vmcnt(0)
	v_add_co_u32_e64 v15, s[6:7], v31, v15
	v_addc_co_u32_e64 v16, s[6:7], v32, v16, s[6:7]
	global_load_dwordx2 v[31:32], v[15:16], off glc
	s_waitcnt vmcnt(0)
	global_atomic_cmpswap_x2 v[15:16], v35, v[31:34], s[10:11] offset:24 glc
	s_waitcnt vmcnt(0)
	buffer_wbinvl1_vol
	v_cmp_ne_u64_e64 s[6:7], v[15:16], v[33:34]
	s_and_saveexec_b64 s[16:17], s[6:7]
	s_cbranch_execz .LBB10_91
; %bb.88:                               ;   in Loop: Header=BB10_30 Depth=1
	s_mov_b64 s[18:19], 0
.LBB10_89:                              ;   Parent Loop BB10_30 Depth=1
                                        ; =>  This Inner Loop Header: Depth=2
	s_sleep 1
	global_load_dwordx2 v[31:32], v35, s[10:11] offset:40
	global_load_dwordx2 v[36:37], v35, s[10:11]
	v_mov_b32_e32 v34, v16
	v_mov_b32_e32 v33, v15
	s_waitcnt vmcnt(1)
	v_and_b32_e32 v15, v31, v33
	s_waitcnt vmcnt(0)
	v_mad_u64_u32 v[15:16], s[6:7], v15, 24, v[36:37]
	v_and_b32_e32 v31, v32, v34
	v_mad_u64_u32 v[31:32], s[6:7], v31, 24, v[16:17]
	v_mov_b32_e32 v16, v31
	global_load_dwordx2 v[31:32], v[15:16], off glc
	s_waitcnt vmcnt(0)
	global_atomic_cmpswap_x2 v[15:16], v35, v[31:34], s[10:11] offset:24 glc
	s_waitcnt vmcnt(0)
	buffer_wbinvl1_vol
	v_cmp_eq_u64_e64 s[6:7], v[15:16], v[33:34]
	s_or_b64 s[18:19], s[6:7], s[18:19]
	s_andn2_b64 exec, exec, s[18:19]
	s_cbranch_execnz .LBB10_89
; %bb.90:                               ;   in Loop: Header=BB10_30 Depth=1
	s_or_b64 exec, exec, s[18:19]
.LBB10_91:                              ;   in Loop: Header=BB10_30 Depth=1
	s_or_b64 exec, exec, s[16:17]
.LBB10_92:                              ;   in Loop: Header=BB10_30 Depth=1
	s_or_b64 exec, exec, s[14:15]
	global_load_dwordx2 v[36:37], v35, s[10:11] offset:40
	global_load_dwordx4 v[31:34], v35, s[10:11]
	v_readfirstlane_b32 s7, v16
	v_readfirstlane_b32 s6, v15
	v_cndmask_b32_e32 v51, 0, v1, vcc
	s_mov_b64 s[14:15], exec
	s_waitcnt vmcnt(1)
	v_readfirstlane_b32 s16, v36
	v_readfirstlane_b32 s17, v37
	s_and_b64 s[16:17], s[16:17], s[6:7]
	s_mul_i32 s18, s17, 24
	s_mul_hi_u32 s19, s16, 24
	s_mul_i32 s22, s16, 24
	s_add_i32 s18, s19, s18
	v_mov_b32_e32 v15, s18
	s_waitcnt vmcnt(0)
	v_add_co_u32_e32 v36, vcc, s22, v31
	v_addc_co_u32_e32 v37, vcc, v32, v15, vcc
	s_and_saveexec_b64 s[18:19], s[4:5]
	s_cbranch_execz .LBB10_94
; %bb.93:                               ;   in Loop: Header=BB10_30 Depth=1
	v_mov_b32_e32 v16, s15
	v_mov_b32_e32 v15, s14
	global_store_dwordx4 v[36:37], v[15:18], off offset:8
.LBB10_94:                              ;   in Loop: Header=BB10_30 Depth=1
	s_or_b64 exec, exec, s[18:19]
	s_lshl_b64 s[14:15], s[16:17], 12
	v_mov_b32_e32 v15, s15
	v_add_co_u32_e32 v33, vcc, s14, v33
	v_addc_co_u32_e32 v52, vcc, v34, v15, vcc
	v_cmp_gt_u64_e32 vcc, 57, v[0:1]
	v_and_b32_e32 v9, 0xffffff1f, v9
	v_cndmask_b32_e32 v15, 0, v48, vcc
	v_lshl_add_u32 v16, v50, 2, 28
	v_or_b32_e32 v9, v9, v15
	v_and_or_b32 v9, v16, s21, v9
	v_readfirstlane_b32 s14, v33
	v_readfirstlane_b32 s15, v52
	s_nop 4
	global_store_dwordx4 v39, v[9:12], s[14:15]
	global_store_dwordx4 v39, v[19:22], s[14:15] offset:16
	global_store_dwordx4 v39, v[23:26], s[14:15] offset:32
	;; [unrolled: 1-line block ×3, first 2 shown]
	s_and_saveexec_b64 s[14:15], s[4:5]
	s_cbranch_execz .LBB10_102
; %bb.95:                               ;   in Loop: Header=BB10_30 Depth=1
	global_load_dwordx2 v[21:22], v35, s[10:11] offset:32 glc
	global_load_dwordx2 v[9:10], v35, s[10:11] offset:40
	v_mov_b32_e32 v19, s6
	v_mov_b32_e32 v20, s7
	s_waitcnt vmcnt(0)
	v_readfirstlane_b32 s16, v9
	v_readfirstlane_b32 s17, v10
	s_and_b64 s[16:17], s[16:17], s[6:7]
	s_mul_i32 s17, s17, 24
	s_mul_hi_u32 s18, s16, 24
	s_mul_i32 s16, s16, 24
	s_add_i32 s17, s18, s17
	v_mov_b32_e32 v9, s17
	v_add_co_u32_e32 v15, vcc, s16, v31
	v_addc_co_u32_e32 v16, vcc, v32, v9, vcc
	global_store_dwordx2 v[15:16], v[21:22], off
	s_waitcnt vmcnt(0)
	global_atomic_cmpswap_x2 v[11:12], v35, v[19:22], s[10:11] offset:32 glc
	s_waitcnt vmcnt(0)
	v_cmp_ne_u64_e32 vcc, v[11:12], v[21:22]
	s_and_saveexec_b64 s[16:17], vcc
	s_cbranch_execz .LBB10_98
; %bb.96:                               ;   in Loop: Header=BB10_30 Depth=1
	s_mov_b64 s[18:19], 0
.LBB10_97:                              ;   Parent Loop BB10_30 Depth=1
                                        ; =>  This Inner Loop Header: Depth=2
	s_sleep 1
	global_store_dwordx2 v[15:16], v[11:12], off
	v_mov_b32_e32 v9, s6
	v_mov_b32_e32 v10, s7
	s_waitcnt vmcnt(0)
	global_atomic_cmpswap_x2 v[9:10], v35, v[9:12], s[10:11] offset:32 glc
	s_waitcnt vmcnt(0)
	v_cmp_eq_u64_e32 vcc, v[9:10], v[11:12]
	v_mov_b32_e32 v12, v10
	s_or_b64 s[18:19], vcc, s[18:19]
	v_mov_b32_e32 v11, v9
	s_andn2_b64 exec, exec, s[18:19]
	s_cbranch_execnz .LBB10_97
.LBB10_98:                              ;   in Loop: Header=BB10_30 Depth=1
	s_or_b64 exec, exec, s[16:17]
	global_load_dwordx2 v[9:10], v35, s[10:11] offset:16
	s_mov_b64 s[18:19], exec
	v_mbcnt_lo_u32_b32 v11, s18, 0
	v_mbcnt_hi_u32_b32 v11, s19, v11
	v_cmp_eq_u32_e32 vcc, 0, v11
	s_and_saveexec_b64 s[16:17], vcc
	s_cbranch_execz .LBB10_100
; %bb.99:                               ;   in Loop: Header=BB10_30 Depth=1
	s_bcnt1_i32_b64 s18, s[18:19]
	v_mov_b32_e32 v34, s18
	s_waitcnt vmcnt(0)
	global_atomic_add_x2 v[9:10], v[34:35], off offset:8
.LBB10_100:                             ;   in Loop: Header=BB10_30 Depth=1
	s_or_b64 exec, exec, s[16:17]
	s_waitcnt vmcnt(0)
	global_load_dwordx2 v[11:12], v[9:10], off offset:16
	s_waitcnt vmcnt(0)
	v_cmp_eq_u64_e32 vcc, 0, v[11:12]
	s_cbranch_vccnz .LBB10_102
; %bb.101:                              ;   in Loop: Header=BB10_30 Depth=1
	global_load_dword v34, v[9:10], off offset:24
	s_waitcnt vmcnt(0)
	v_readfirstlane_b32 s16, v34
	s_and_b32 m0, s16, 0xffffff
	global_store_dwordx2 v[11:12], v[34:35], off
	s_sendmsg sendmsg(MSG_INTERRUPT)
.LBB10_102:                             ;   in Loop: Header=BB10_30 Depth=1
	s_or_b64 exec, exec, s[14:15]
	v_add_co_u32_e32 v9, vcc, v33, v39
	v_addc_co_u32_e32 v10, vcc, 0, v52, vcc
	s_branch .LBB10_106
.LBB10_103:                             ;   in Loop: Header=BB10_106 Depth=2
	s_or_b64 exec, exec, s[14:15]
	v_readfirstlane_b32 s14, v11
	s_cmp_eq_u32 s14, 0
	s_cbranch_scc1 .LBB10_105
; %bb.104:                              ;   in Loop: Header=BB10_106 Depth=2
	s_sleep 1
	s_cbranch_execnz .LBB10_106
	s_branch .LBB10_108
.LBB10_105:                             ;   in Loop: Header=BB10_30 Depth=1
	s_branch .LBB10_108
.LBB10_106:                             ;   Parent Loop BB10_30 Depth=1
                                        ; =>  This Inner Loop Header: Depth=2
	v_mov_b32_e32 v11, 1
	s_and_saveexec_b64 s[14:15], s[4:5]
	s_cbranch_execz .LBB10_103
; %bb.107:                              ;   in Loop: Header=BB10_106 Depth=2
	global_load_dword v11, v[36:37], off offset:20 glc
	s_waitcnt vmcnt(0)
	buffer_wbinvl1_vol
	v_and_b32_e32 v11, 1, v11
	s_branch .LBB10_103
.LBB10_108:                             ;   in Loop: Header=BB10_30 Depth=1
	global_load_dwordx2 v[9:10], v[9:10], off
	s_and_saveexec_b64 s[14:15], s[4:5]
	s_cbranch_execz .LBB10_29
; %bb.109:                              ;   in Loop: Header=BB10_30 Depth=1
	global_load_dwordx2 v[11:12], v35, s[10:11] offset:40
	global_load_dwordx2 v[23:24], v35, s[10:11] offset:24 glc
	global_load_dwordx2 v[15:16], v35, s[10:11]
	s_waitcnt vmcnt(2)
	v_readfirstlane_b32 s16, v11
	v_readfirstlane_b32 s17, v12
	s_add_u32 s18, s16, 1
	s_addc_u32 s19, s17, 0
	s_add_u32 s4, s18, s6
	s_addc_u32 s5, s19, s7
	s_cmp_eq_u64 s[4:5], 0
	s_cselect_b32 s5, s19, s5
	s_cselect_b32 s4, s18, s4
	s_and_b64 s[6:7], s[4:5], s[16:17]
	s_mul_i32 s7, s7, 24
	s_mul_hi_u32 s16, s6, 24
	s_mul_i32 s6, s6, 24
	s_add_i32 s7, s16, s7
	v_mov_b32_e32 v12, s7
	s_waitcnt vmcnt(0)
	v_add_co_u32_e32 v11, vcc, s6, v15
	v_addc_co_u32_e32 v12, vcc, v16, v12, vcc
	v_mov_b32_e32 v21, s4
	global_store_dwordx2 v[11:12], v[23:24], off
	v_mov_b32_e32 v22, s5
	s_waitcnt vmcnt(0)
	global_atomic_cmpswap_x2 v[21:22], v35, v[21:24], s[10:11] offset:24 glc
	s_waitcnt vmcnt(0)
	v_cmp_ne_u64_e32 vcc, v[21:22], v[23:24]
	s_and_b64 exec, exec, vcc
	s_cbranch_execz .LBB10_29
; %bb.110:                              ;   in Loop: Header=BB10_30 Depth=1
	s_mov_b64 s[6:7], 0
.LBB10_111:                             ;   Parent Loop BB10_30 Depth=1
                                        ; =>  This Inner Loop Header: Depth=2
	s_sleep 1
	global_store_dwordx2 v[11:12], v[21:22], off
	v_mov_b32_e32 v19, s4
	v_mov_b32_e32 v20, s5
	s_waitcnt vmcnt(0)
	global_atomic_cmpswap_x2 v[15:16], v35, v[19:22], s[10:11] offset:24 glc
	s_waitcnt vmcnt(0)
	v_cmp_eq_u64_e32 vcc, v[15:16], v[21:22]
	v_mov_b32_e32 v22, v16
	s_or_b64 s[6:7], vcc, s[6:7]
	v_mov_b32_e32 v21, v15
	s_andn2_b64 exec, exec, s[6:7]
	s_cbranch_execnz .LBB10_111
	s_branch .LBB10_29
.LBB10_112:
                                        ; implicit-def: $vgpr9_vgpr10
	s_cbranch_execnz .LBB10_114
	s_branch .LBB10_140
.LBB10_113:
	s_or_b64 exec, exec, s[12:13]
	s_branch .LBB10_140
.LBB10_114:
	v_readfirstlane_b32 s4, v38
	v_mov_b32_e32 v0, 0
	v_mov_b32_e32 v1, 0
	v_cmp_eq_u32_e64 s[4:5], s4, v38
	s_and_saveexec_b64 s[6:7], s[4:5]
	s_cbranch_execz .LBB10_120
; %bb.115:
	s_waitcnt vmcnt(0)
	v_mov_b32_e32 v9, 0
	global_load_dwordx2 v[17:18], v9, s[10:11] offset:24 glc
	s_waitcnt vmcnt(0)
	buffer_wbinvl1_vol
	global_load_dwordx2 v[0:1], v9, s[10:11] offset:40
	global_load_dwordx2 v[10:11], v9, s[10:11]
	s_waitcnt vmcnt(1)
	v_and_b32_e32 v0, v0, v17
	v_and_b32_e32 v1, v1, v18
	v_mul_lo_u32 v1, v1, 24
	v_mul_hi_u32 v12, v0, 24
	v_mul_lo_u32 v0, v0, 24
	v_add_u32_e32 v1, v12, v1
	s_waitcnt vmcnt(0)
	v_add_co_u32_e32 v0, vcc, v10, v0
	v_addc_co_u32_e32 v1, vcc, v11, v1, vcc
	global_load_dwordx2 v[15:16], v[0:1], off glc
	s_waitcnt vmcnt(0)
	global_atomic_cmpswap_x2 v[0:1], v9, v[15:18], s[10:11] offset:24 glc
	s_waitcnt vmcnt(0)
	buffer_wbinvl1_vol
	v_cmp_ne_u64_e32 vcc, v[0:1], v[17:18]
	s_and_saveexec_b64 s[12:13], vcc
	s_cbranch_execz .LBB10_119
; %bb.116:
	s_mov_b64 s[14:15], 0
.LBB10_117:                             ; =>This Inner Loop Header: Depth=1
	s_sleep 1
	global_load_dwordx2 v[10:11], v9, s[10:11] offset:40
	global_load_dwordx2 v[15:16], v9, s[10:11]
	v_mov_b32_e32 v18, v1
	v_mov_b32_e32 v17, v0
	s_waitcnt vmcnt(1)
	v_and_b32_e32 v0, v10, v17
	s_waitcnt vmcnt(0)
	v_mad_u64_u32 v[0:1], s[16:17], v0, 24, v[15:16]
	v_and_b32_e32 v10, v11, v18
	v_mad_u64_u32 v[10:11], s[16:17], v10, 24, v[1:2]
	v_mov_b32_e32 v1, v10
	global_load_dwordx2 v[15:16], v[0:1], off glc
	s_waitcnt vmcnt(0)
	global_atomic_cmpswap_x2 v[0:1], v9, v[15:18], s[10:11] offset:24 glc
	s_waitcnt vmcnt(0)
	buffer_wbinvl1_vol
	v_cmp_eq_u64_e32 vcc, v[0:1], v[17:18]
	s_or_b64 s[14:15], vcc, s[14:15]
	s_andn2_b64 exec, exec, s[14:15]
	s_cbranch_execnz .LBB10_117
; %bb.118:
	s_or_b64 exec, exec, s[14:15]
.LBB10_119:
	s_or_b64 exec, exec, s[12:13]
.LBB10_120:
	s_or_b64 exec, exec, s[6:7]
	v_mov_b32_e32 v15, 0
	global_load_dwordx2 v[16:17], v15, s[10:11] offset:40
	global_load_dwordx4 v[9:12], v15, s[10:11]
	v_readfirstlane_b32 s7, v1
	v_readfirstlane_b32 s6, v0
	s_mov_b64 s[12:13], exec
	s_waitcnt vmcnt(1)
	v_readfirstlane_b32 s14, v16
	v_readfirstlane_b32 s15, v17
	s_and_b64 s[14:15], s[14:15], s[6:7]
	s_mul_i32 s16, s15, 24
	s_mul_hi_u32 s17, s14, 24
	s_mul_i32 s18, s14, 24
	s_add_i32 s16, s17, s16
	v_mov_b32_e32 v1, s16
	s_waitcnt vmcnt(0)
	v_add_co_u32_e32 v0, vcc, s18, v9
	v_addc_co_u32_e32 v1, vcc, v10, v1, vcc
	s_and_saveexec_b64 s[16:17], s[4:5]
	s_cbranch_execz .LBB10_122
; %bb.121:
	v_mov_b32_e32 v17, s13
	v_mov_b32_e32 v16, s12
	;; [unrolled: 1-line block ×4, first 2 shown]
	global_store_dwordx4 v[0:1], v[16:19], off offset:8
.LBB10_122:
	s_or_b64 exec, exec, s[16:17]
	s_lshl_b64 s[12:13], s[14:15], 12
	v_mov_b32_e32 v16, s13
	v_add_co_u32_e32 v11, vcc, s12, v11
	v_addc_co_u32_e32 v12, vcc, v12, v16, vcc
	s_movk_i32 s12, 0xff1f
	v_and_or_b32 v13, v13, s12, 32
	v_add_co_u32_e32 v17, vcc, v11, v39
	s_mov_b32 s12, 0
	v_mov_b32_e32 v16, v15
	v_readfirstlane_b32 s16, v11
	v_readfirstlane_b32 s17, v12
	v_addc_co_u32_e32 v18, vcc, 0, v12, vcc
	s_mov_b32 s13, s12
	s_mov_b32 s14, s12
	;; [unrolled: 1-line block ×3, first 2 shown]
	s_nop 0
	global_store_dwordx4 v39, v[13:16], s[16:17]
	v_mov_b32_e32 v11, s12
	v_mov_b32_e32 v12, s13
	;; [unrolled: 1-line block ×4, first 2 shown]
	global_store_dwordx4 v39, v[11:14], s[16:17] offset:16
	global_store_dwordx4 v39, v[11:14], s[16:17] offset:32
	;; [unrolled: 1-line block ×3, first 2 shown]
	s_and_saveexec_b64 s[12:13], s[4:5]
	s_cbranch_execz .LBB10_130
; %bb.123:
	v_mov_b32_e32 v15, 0
	global_load_dwordx2 v[21:22], v15, s[10:11] offset:32 glc
	global_load_dwordx2 v[11:12], v15, s[10:11] offset:40
	v_mov_b32_e32 v19, s6
	v_mov_b32_e32 v20, s7
	s_waitcnt vmcnt(0)
	v_readfirstlane_b32 s14, v11
	v_readfirstlane_b32 s15, v12
	s_and_b64 s[14:15], s[14:15], s[6:7]
	s_mul_i32 s15, s15, 24
	s_mul_hi_u32 s16, s14, 24
	s_mul_i32 s14, s14, 24
	s_add_i32 s15, s16, s15
	v_mov_b32_e32 v11, s15
	v_add_co_u32_e32 v13, vcc, s14, v9
	v_addc_co_u32_e32 v14, vcc, v10, v11, vcc
	global_store_dwordx2 v[13:14], v[21:22], off
	s_waitcnt vmcnt(0)
	global_atomic_cmpswap_x2 v[11:12], v15, v[19:22], s[10:11] offset:32 glc
	s_waitcnt vmcnt(0)
	v_cmp_ne_u64_e32 vcc, v[11:12], v[21:22]
	s_and_saveexec_b64 s[14:15], vcc
	s_cbranch_execz .LBB10_126
; %bb.124:
	s_mov_b64 s[16:17], 0
.LBB10_125:                             ; =>This Inner Loop Header: Depth=1
	s_sleep 1
	global_store_dwordx2 v[13:14], v[11:12], off
	v_mov_b32_e32 v9, s6
	v_mov_b32_e32 v10, s7
	s_waitcnt vmcnt(0)
	global_atomic_cmpswap_x2 v[9:10], v15, v[9:12], s[10:11] offset:32 glc
	s_waitcnt vmcnt(0)
	v_cmp_eq_u64_e32 vcc, v[9:10], v[11:12]
	v_mov_b32_e32 v12, v10
	s_or_b64 s[16:17], vcc, s[16:17]
	v_mov_b32_e32 v11, v9
	s_andn2_b64 exec, exec, s[16:17]
	s_cbranch_execnz .LBB10_125
.LBB10_126:
	s_or_b64 exec, exec, s[14:15]
	v_mov_b32_e32 v12, 0
	global_load_dwordx2 v[9:10], v12, s[10:11] offset:16
	s_mov_b64 s[14:15], exec
	v_mbcnt_lo_u32_b32 v11, s14, 0
	v_mbcnt_hi_u32_b32 v11, s15, v11
	v_cmp_eq_u32_e32 vcc, 0, v11
	s_and_saveexec_b64 s[16:17], vcc
	s_cbranch_execz .LBB10_128
; %bb.127:
	s_bcnt1_i32_b64 s14, s[14:15]
	v_mov_b32_e32 v11, s14
	s_waitcnt vmcnt(0)
	global_atomic_add_x2 v[9:10], v[11:12], off offset:8
.LBB10_128:
	s_or_b64 exec, exec, s[16:17]
	s_waitcnt vmcnt(0)
	global_load_dwordx2 v[11:12], v[9:10], off offset:16
	s_waitcnt vmcnt(0)
	v_cmp_eq_u64_e32 vcc, 0, v[11:12]
	s_cbranch_vccnz .LBB10_130
; %bb.129:
	global_load_dword v9, v[9:10], off offset:24
	v_mov_b32_e32 v10, 0
	s_waitcnt vmcnt(0)
	v_readfirstlane_b32 s14, v9
	s_and_b32 m0, s14, 0xffffff
	global_store_dwordx2 v[11:12], v[9:10], off
	s_sendmsg sendmsg(MSG_INTERRUPT)
.LBB10_130:
	s_or_b64 exec, exec, s[12:13]
	s_branch .LBB10_134
.LBB10_131:                             ;   in Loop: Header=BB10_134 Depth=1
	s_or_b64 exec, exec, s[12:13]
	v_readfirstlane_b32 s12, v9
	s_cmp_eq_u32 s12, 0
	s_cbranch_scc1 .LBB10_133
; %bb.132:                              ;   in Loop: Header=BB10_134 Depth=1
	s_sleep 1
	s_cbranch_execnz .LBB10_134
	s_branch .LBB10_136
.LBB10_133:
	s_branch .LBB10_136
.LBB10_134:                             ; =>This Inner Loop Header: Depth=1
	v_mov_b32_e32 v9, 1
	s_and_saveexec_b64 s[12:13], s[4:5]
	s_cbranch_execz .LBB10_131
; %bb.135:                              ;   in Loop: Header=BB10_134 Depth=1
	global_load_dword v9, v[0:1], off offset:20 glc
	s_waitcnt vmcnt(0)
	buffer_wbinvl1_vol
	v_and_b32_e32 v9, 1, v9
	s_branch .LBB10_131
.LBB10_136:
	global_load_dwordx2 v[9:10], v[17:18], off
	s_and_saveexec_b64 s[12:13], s[4:5]
	s_cbranch_execz .LBB10_139
; %bb.137:
	v_mov_b32_e32 v15, 0
	global_load_dwordx2 v[0:1], v15, s[10:11] offset:40
	global_load_dwordx2 v[18:19], v15, s[10:11] offset:24 glc
	global_load_dwordx2 v[11:12], v15, s[10:11]
	s_waitcnt vmcnt(2)
	v_readfirstlane_b32 s14, v0
	v_readfirstlane_b32 s15, v1
	s_add_u32 s16, s14, 1
	s_addc_u32 s17, s15, 0
	s_add_u32 s4, s16, s6
	s_addc_u32 s5, s17, s7
	s_cmp_eq_u64 s[4:5], 0
	s_cselect_b32 s5, s17, s5
	s_cselect_b32 s4, s16, s4
	s_and_b64 s[6:7], s[4:5], s[14:15]
	s_mul_i32 s7, s7, 24
	s_mul_hi_u32 s14, s6, 24
	s_mul_i32 s6, s6, 24
	s_add_i32 s7, s14, s7
	v_mov_b32_e32 v1, s7
	s_waitcnt vmcnt(0)
	v_add_co_u32_e32 v0, vcc, s6, v11
	v_addc_co_u32_e32 v1, vcc, v12, v1, vcc
	v_mov_b32_e32 v16, s4
	global_store_dwordx2 v[0:1], v[18:19], off
	v_mov_b32_e32 v17, s5
	s_waitcnt vmcnt(0)
	global_atomic_cmpswap_x2 v[13:14], v15, v[16:19], s[10:11] offset:24 glc
	s_mov_b64 s[6:7], 0
	s_waitcnt vmcnt(0)
	v_cmp_ne_u64_e32 vcc, v[13:14], v[18:19]
	s_and_b64 exec, exec, vcc
	s_cbranch_execz .LBB10_139
.LBB10_138:                             ; =>This Inner Loop Header: Depth=1
	s_sleep 1
	global_store_dwordx2 v[0:1], v[13:14], off
	v_mov_b32_e32 v11, s4
	v_mov_b32_e32 v12, s5
	s_waitcnt vmcnt(0)
	global_atomic_cmpswap_x2 v[11:12], v15, v[11:14], s[10:11] offset:24 glc
	s_waitcnt vmcnt(0)
	v_cmp_eq_u64_e32 vcc, v[11:12], v[13:14]
	v_mov_b32_e32 v14, v12
	s_or_b64 s[6:7], vcc, s[6:7]
	v_mov_b32_e32 v13, v11
	s_andn2_b64 exec, exec, s[6:7]
	s_cbranch_execnz .LBB10_138
.LBB10_139:
	s_or_b64 exec, exec, s[12:13]
.LBB10_140:
	v_mov_b32_e32 v12, v3
	s_mov_b64 s[4:5], 0
	v_mov_b32_e32 v11, v2
.LBB10_141:                             ; =>This Inner Loop Header: Depth=1
	global_load_ubyte v13, v[11:12], off
	v_add_co_u32_e32 v0, vcc, 1, v11
	v_addc_co_u32_e32 v1, vcc, 0, v12, vcc
	v_mov_b32_e32 v12, v1
	v_mov_b32_e32 v11, v0
	s_waitcnt vmcnt(0)
	v_cmp_eq_u16_e32 vcc, 0, v13
	s_or_b64 s[4:5], vcc, s[4:5]
	s_andn2_b64 exec, exec, s[4:5]
	s_cbranch_execnz .LBB10_141
; %bb.142:
	s_or_b64 exec, exec, s[4:5]
	v_cmp_ne_u64_e32 vcc, 0, v[2:3]
	s_mov_b64 s[12:13], 0
	s_and_saveexec_b64 s[4:5], vcc
	s_xor_b64 s[6:7], exec, s[4:5]
	s_cbranch_execz .LBB10_228
; %bb.143:
	v_sub_u32_e32 v0, v0, v2
	v_ashrrev_i32_e32 v1, 31, v0
	v_and_b32_e32 v48, 2, v9
	v_mov_b32_e32 v33, 0
	v_and_b32_e32 v9, -3, v9
	s_mov_b32 s22, 0
	s_movk_i32 s23, 0x1e0
	v_mov_b32_e32 v15, 2
	v_mov_b32_e32 v16, 1
	s_branch .LBB10_145
.LBB10_144:                             ;   in Loop: Header=BB10_145 Depth=1
	s_or_b64 exec, exec, s[16:17]
	v_sub_co_u32_e32 v0, vcc, v0, v34
	v_subb_co_u32_e32 v1, vcc, v1, v35, vcc
	v_cmp_eq_u64_e32 vcc, 0, v[0:1]
	s_or_b64 s[12:13], vcc, s[12:13]
	v_add_co_u32_e32 v2, vcc, v2, v34
	v_addc_co_u32_e32 v3, vcc, v3, v35, vcc
	s_andn2_b64 exec, exec, s[12:13]
	s_cbranch_execz .LBB10_227
.LBB10_145:                             ; =>This Loop Header: Depth=1
                                        ;     Child Loop BB10_148 Depth 2
                                        ;     Child Loop BB10_156 Depth 2
	;; [unrolled: 1-line block ×11, first 2 shown]
	v_cmp_gt_u64_e32 vcc, 56, v[0:1]
	v_add_co_u32_e64 v19, s[4:5], 8, v2
	v_cndmask_b32_e32 v35, 0, v1, vcc
	v_cndmask_b32_e32 v34, 56, v0, vcc
	v_cmp_gt_u64_e32 vcc, 8, v[0:1]
	v_addc_co_u32_e64 v20, s[4:5], 0, v3, s[4:5]
	s_and_saveexec_b64 s[4:5], vcc
	s_xor_b64 s[4:5], exec, s[4:5]
	s_cbranch_execz .LBB10_151
; %bb.146:                              ;   in Loop: Header=BB10_145 Depth=1
	v_mov_b32_e32 v11, 0
	v_cmp_ne_u64_e32 vcc, 0, v[0:1]
	v_mov_b32_e32 v12, 0
	s_and_saveexec_b64 s[14:15], vcc
	s_cbranch_execz .LBB10_150
; %bb.147:                              ;   in Loop: Header=BB10_145 Depth=1
	v_lshlrev_b64 v[13:14], 3, v[34:35]
	v_mov_b32_e32 v11, 0
	v_mov_b32_e32 v18, v3
	s_mov_b64 s[16:17], 0
	v_mov_b32_e32 v12, 0
	v_mov_b32_e32 v17, v2
	s_mov_b64 s[18:19], 0
.LBB10_148:                             ;   Parent Loop BB10_145 Depth=1
                                        ; =>  This Inner Loop Header: Depth=2
	global_load_ubyte v14, v[17:18], off
	v_mov_b32_e32 v20, s22
	v_add_co_u32_e32 v17, vcc, 1, v17
	v_addc_co_u32_e32 v18, vcc, 0, v18, vcc
	s_waitcnt vmcnt(0)
	v_and_b32_e32 v19, 0xffff, v14
	v_lshlrev_b64 v[19:20], s18, v[19:20]
	s_add_u32 s18, s18, 8
	s_addc_u32 s19, s19, 0
	v_cmp_eq_u32_e32 vcc, s18, v13
	v_or_b32_e32 v12, v20, v12
	s_or_b64 s[16:17], vcc, s[16:17]
	v_or_b32_e32 v11, v19, v11
	s_andn2_b64 exec, exec, s[16:17]
	s_cbranch_execnz .LBB10_148
; %bb.149:                              ;   in Loop: Header=BB10_145 Depth=1
	s_or_b64 exec, exec, s[16:17]
.LBB10_150:                             ;   in Loop: Header=BB10_145 Depth=1
	s_or_b64 exec, exec, s[14:15]
	v_mov_b32_e32 v20, v3
	v_mov_b32_e32 v19, v2
.LBB10_151:                             ;   in Loop: Header=BB10_145 Depth=1
	s_or_saveexec_b64 s[4:5], s[4:5]
	v_mov_b32_e32 v21, 0
	s_xor_b64 exec, exec, s[4:5]
	s_cbranch_execz .LBB10_153
; %bb.152:                              ;   in Loop: Header=BB10_145 Depth=1
	global_load_dwordx2 v[11:12], v[2:3], off
	v_add_u32_e32 v21, -8, v34
.LBB10_153:                             ;   in Loop: Header=BB10_145 Depth=1
	s_or_b64 exec, exec, s[4:5]
	v_add_co_u32_e64 v13, s[4:5], 8, v19
	v_cmp_gt_u32_e32 vcc, 8, v21
	v_addc_co_u32_e64 v14, s[4:5], 0, v20, s[4:5]
                                        ; implicit-def: $vgpr17_vgpr18
	s_and_saveexec_b64 s[4:5], vcc
	s_xor_b64 s[4:5], exec, s[4:5]
	s_cbranch_execz .LBB10_159
; %bb.154:                              ;   in Loop: Header=BB10_145 Depth=1
	v_mov_b32_e32 v17, 0
	v_mov_b32_e32 v18, 0
	v_cmp_ne_u32_e32 vcc, 0, v21
	s_and_saveexec_b64 s[14:15], vcc
	s_cbranch_execz .LBB10_158
; %bb.155:                              ;   in Loop: Header=BB10_145 Depth=1
	v_mov_b32_e32 v17, 0
	s_mov_b64 s[16:17], 0
	v_mov_b32_e32 v18, 0
	s_mov_b64 s[18:19], 0
	s_mov_b64 s[20:21], 0
.LBB10_156:                             ;   Parent Loop BB10_145 Depth=1
                                        ; =>  This Inner Loop Header: Depth=2
	v_mov_b32_e32 v14, s21
	v_add_co_u32_e32 v13, vcc, s20, v19
	v_addc_co_u32_e32 v14, vcc, v20, v14, vcc
	global_load_ubyte v13, v[13:14], off
	s_add_u32 s20, s20, 1
	v_mov_b32_e32 v14, s22
	s_addc_u32 s21, s21, 0
	v_cmp_eq_u32_e32 vcc, s20, v21
	s_waitcnt vmcnt(0)
	v_and_b32_e32 v13, 0xffff, v13
	v_lshlrev_b64 v[13:14], s18, v[13:14]
	s_add_u32 s18, s18, 8
	s_addc_u32 s19, s19, 0
	v_or_b32_e32 v18, v14, v18
	s_or_b64 s[16:17], vcc, s[16:17]
	v_or_b32_e32 v17, v13, v17
	s_andn2_b64 exec, exec, s[16:17]
	s_cbranch_execnz .LBB10_156
; %bb.157:                              ;   in Loop: Header=BB10_145 Depth=1
	s_or_b64 exec, exec, s[16:17]
.LBB10_158:                             ;   in Loop: Header=BB10_145 Depth=1
	s_or_b64 exec, exec, s[14:15]
	v_mov_b32_e32 v13, v19
	v_mov_b32_e32 v14, v20
                                        ; implicit-def: $vgpr21
.LBB10_159:                             ;   in Loop: Header=BB10_145 Depth=1
	s_or_saveexec_b64 s[4:5], s[4:5]
	v_mov_b32_e32 v22, 0
	s_xor_b64 exec, exec, s[4:5]
	s_cbranch_execz .LBB10_161
; %bb.160:                              ;   in Loop: Header=BB10_145 Depth=1
	global_load_dwordx2 v[17:18], v[19:20], off
	v_add_u32_e32 v22, -8, v21
.LBB10_161:                             ;   in Loop: Header=BB10_145 Depth=1
	s_or_b64 exec, exec, s[4:5]
	v_add_co_u32_e64 v23, s[4:5], 8, v13
	v_cmp_gt_u32_e32 vcc, 8, v22
	v_addc_co_u32_e64 v24, s[4:5], 0, v14, s[4:5]
	s_and_saveexec_b64 s[4:5], vcc
	s_xor_b64 s[4:5], exec, s[4:5]
	s_cbranch_execz .LBB10_167
; %bb.162:                              ;   in Loop: Header=BB10_145 Depth=1
	v_mov_b32_e32 v19, 0
	v_mov_b32_e32 v20, 0
	v_cmp_ne_u32_e32 vcc, 0, v22
	s_and_saveexec_b64 s[14:15], vcc
	s_cbranch_execz .LBB10_166
; %bb.163:                              ;   in Loop: Header=BB10_145 Depth=1
	v_mov_b32_e32 v19, 0
	s_mov_b64 s[16:17], 0
	v_mov_b32_e32 v20, 0
	s_mov_b64 s[18:19], 0
	s_mov_b64 s[20:21], 0
.LBB10_164:                             ;   Parent Loop BB10_145 Depth=1
                                        ; =>  This Inner Loop Header: Depth=2
	v_mov_b32_e32 v21, s21
	v_add_co_u32_e32 v23, vcc, s20, v13
	v_addc_co_u32_e32 v24, vcc, v14, v21, vcc
	global_load_ubyte v21, v[23:24], off
	s_add_u32 s20, s20, 1
	v_mov_b32_e32 v24, s22
	s_addc_u32 s21, s21, 0
	v_cmp_eq_u32_e32 vcc, s20, v22
	s_waitcnt vmcnt(0)
	v_and_b32_e32 v23, 0xffff, v21
	v_lshlrev_b64 v[23:24], s18, v[23:24]
	s_add_u32 s18, s18, 8
	s_addc_u32 s19, s19, 0
	v_or_b32_e32 v20, v24, v20
	s_or_b64 s[16:17], vcc, s[16:17]
	v_or_b32_e32 v19, v23, v19
	s_andn2_b64 exec, exec, s[16:17]
	s_cbranch_execnz .LBB10_164
; %bb.165:                              ;   in Loop: Header=BB10_145 Depth=1
	s_or_b64 exec, exec, s[16:17]
.LBB10_166:                             ;   in Loop: Header=BB10_145 Depth=1
	s_or_b64 exec, exec, s[14:15]
	v_mov_b32_e32 v24, v14
	v_mov_b32_e32 v23, v13
                                        ; implicit-def: $vgpr22
.LBB10_167:                             ;   in Loop: Header=BB10_145 Depth=1
	s_or_saveexec_b64 s[4:5], s[4:5]
	v_mov_b32_e32 v25, 0
	s_xor_b64 exec, exec, s[4:5]
	s_cbranch_execz .LBB10_169
; %bb.168:                              ;   in Loop: Header=BB10_145 Depth=1
	global_load_dwordx2 v[19:20], v[13:14], off
	v_add_u32_e32 v25, -8, v22
.LBB10_169:                             ;   in Loop: Header=BB10_145 Depth=1
	s_or_b64 exec, exec, s[4:5]
	v_add_co_u32_e64 v13, s[4:5], 8, v23
	v_cmp_gt_u32_e32 vcc, 8, v25
	v_addc_co_u32_e64 v14, s[4:5], 0, v24, s[4:5]
                                        ; implicit-def: $vgpr21_vgpr22
	s_and_saveexec_b64 s[4:5], vcc
	s_xor_b64 s[4:5], exec, s[4:5]
	s_cbranch_execz .LBB10_175
; %bb.170:                              ;   in Loop: Header=BB10_145 Depth=1
	v_mov_b32_e32 v21, 0
	v_mov_b32_e32 v22, 0
	v_cmp_ne_u32_e32 vcc, 0, v25
	s_and_saveexec_b64 s[14:15], vcc
	s_cbranch_execz .LBB10_174
; %bb.171:                              ;   in Loop: Header=BB10_145 Depth=1
	v_mov_b32_e32 v21, 0
	s_mov_b64 s[16:17], 0
	v_mov_b32_e32 v22, 0
	s_mov_b64 s[18:19], 0
	s_mov_b64 s[20:21], 0
.LBB10_172:                             ;   Parent Loop BB10_145 Depth=1
                                        ; =>  This Inner Loop Header: Depth=2
	v_mov_b32_e32 v14, s21
	v_add_co_u32_e32 v13, vcc, s20, v23
	v_addc_co_u32_e32 v14, vcc, v24, v14, vcc
	global_load_ubyte v13, v[13:14], off
	s_add_u32 s20, s20, 1
	v_mov_b32_e32 v14, s22
	s_addc_u32 s21, s21, 0
	v_cmp_eq_u32_e32 vcc, s20, v25
	s_waitcnt vmcnt(0)
	v_and_b32_e32 v13, 0xffff, v13
	v_lshlrev_b64 v[13:14], s18, v[13:14]
	s_add_u32 s18, s18, 8
	s_addc_u32 s19, s19, 0
	v_or_b32_e32 v22, v14, v22
	s_or_b64 s[16:17], vcc, s[16:17]
	v_or_b32_e32 v21, v13, v21
	s_andn2_b64 exec, exec, s[16:17]
	s_cbranch_execnz .LBB10_172
; %bb.173:                              ;   in Loop: Header=BB10_145 Depth=1
	s_or_b64 exec, exec, s[16:17]
.LBB10_174:                             ;   in Loop: Header=BB10_145 Depth=1
	s_or_b64 exec, exec, s[14:15]
	v_mov_b32_e32 v13, v23
	v_mov_b32_e32 v14, v24
                                        ; implicit-def: $vgpr25
.LBB10_175:                             ;   in Loop: Header=BB10_145 Depth=1
	s_or_saveexec_b64 s[4:5], s[4:5]
	v_mov_b32_e32 v26, 0
	s_xor_b64 exec, exec, s[4:5]
	s_cbranch_execz .LBB10_177
; %bb.176:                              ;   in Loop: Header=BB10_145 Depth=1
	global_load_dwordx2 v[21:22], v[23:24], off
	v_add_u32_e32 v26, -8, v25
.LBB10_177:                             ;   in Loop: Header=BB10_145 Depth=1
	s_or_b64 exec, exec, s[4:5]
	v_add_co_u32_e64 v27, s[4:5], 8, v13
	v_cmp_gt_u32_e32 vcc, 8, v26
	v_addc_co_u32_e64 v28, s[4:5], 0, v14, s[4:5]
	s_and_saveexec_b64 s[4:5], vcc
	s_xor_b64 s[4:5], exec, s[4:5]
	s_cbranch_execz .LBB10_183
; %bb.178:                              ;   in Loop: Header=BB10_145 Depth=1
	v_mov_b32_e32 v23, 0
	v_mov_b32_e32 v24, 0
	v_cmp_ne_u32_e32 vcc, 0, v26
	s_and_saveexec_b64 s[14:15], vcc
	s_cbranch_execz .LBB10_182
; %bb.179:                              ;   in Loop: Header=BB10_145 Depth=1
	v_mov_b32_e32 v23, 0
	s_mov_b64 s[16:17], 0
	v_mov_b32_e32 v24, 0
	s_mov_b64 s[18:19], 0
	s_mov_b64 s[20:21], 0
.LBB10_180:                             ;   Parent Loop BB10_145 Depth=1
                                        ; =>  This Inner Loop Header: Depth=2
	v_mov_b32_e32 v25, s21
	v_add_co_u32_e32 v27, vcc, s20, v13
	v_addc_co_u32_e32 v28, vcc, v14, v25, vcc
	global_load_ubyte v25, v[27:28], off
	s_add_u32 s20, s20, 1
	v_mov_b32_e32 v28, s22
	s_addc_u32 s21, s21, 0
	v_cmp_eq_u32_e32 vcc, s20, v26
	s_waitcnt vmcnt(0)
	v_and_b32_e32 v27, 0xffff, v25
	v_lshlrev_b64 v[27:28], s18, v[27:28]
	s_add_u32 s18, s18, 8
	s_addc_u32 s19, s19, 0
	v_or_b32_e32 v24, v28, v24
	s_or_b64 s[16:17], vcc, s[16:17]
	v_or_b32_e32 v23, v27, v23
	s_andn2_b64 exec, exec, s[16:17]
	s_cbranch_execnz .LBB10_180
; %bb.181:                              ;   in Loop: Header=BB10_145 Depth=1
	s_or_b64 exec, exec, s[16:17]
.LBB10_182:                             ;   in Loop: Header=BB10_145 Depth=1
	s_or_b64 exec, exec, s[14:15]
	v_mov_b32_e32 v28, v14
	v_mov_b32_e32 v27, v13
                                        ; implicit-def: $vgpr26
.LBB10_183:                             ;   in Loop: Header=BB10_145 Depth=1
	s_or_saveexec_b64 s[4:5], s[4:5]
	v_mov_b32_e32 v29, 0
	s_xor_b64 exec, exec, s[4:5]
	s_cbranch_execz .LBB10_185
; %bb.184:                              ;   in Loop: Header=BB10_145 Depth=1
	global_load_dwordx2 v[23:24], v[13:14], off
	v_add_u32_e32 v29, -8, v26
.LBB10_185:                             ;   in Loop: Header=BB10_145 Depth=1
	s_or_b64 exec, exec, s[4:5]
	v_add_co_u32_e64 v13, s[4:5], 8, v27
	v_cmp_gt_u32_e32 vcc, 8, v29
	v_addc_co_u32_e64 v14, s[4:5], 0, v28, s[4:5]
                                        ; implicit-def: $vgpr25_vgpr26
	s_and_saveexec_b64 s[4:5], vcc
	s_xor_b64 s[4:5], exec, s[4:5]
	s_cbranch_execz .LBB10_191
; %bb.186:                              ;   in Loop: Header=BB10_145 Depth=1
	v_mov_b32_e32 v25, 0
	v_mov_b32_e32 v26, 0
	v_cmp_ne_u32_e32 vcc, 0, v29
	s_and_saveexec_b64 s[14:15], vcc
	s_cbranch_execz .LBB10_190
; %bb.187:                              ;   in Loop: Header=BB10_145 Depth=1
	v_mov_b32_e32 v25, 0
	s_mov_b64 s[16:17], 0
	v_mov_b32_e32 v26, 0
	s_mov_b64 s[18:19], 0
	s_mov_b64 s[20:21], 0
.LBB10_188:                             ;   Parent Loop BB10_145 Depth=1
                                        ; =>  This Inner Loop Header: Depth=2
	v_mov_b32_e32 v14, s21
	v_add_co_u32_e32 v13, vcc, s20, v27
	v_addc_co_u32_e32 v14, vcc, v28, v14, vcc
	global_load_ubyte v13, v[13:14], off
	s_add_u32 s20, s20, 1
	v_mov_b32_e32 v14, s22
	s_addc_u32 s21, s21, 0
	v_cmp_eq_u32_e32 vcc, s20, v29
	s_waitcnt vmcnt(0)
	v_and_b32_e32 v13, 0xffff, v13
	v_lshlrev_b64 v[13:14], s18, v[13:14]
	s_add_u32 s18, s18, 8
	s_addc_u32 s19, s19, 0
	v_or_b32_e32 v26, v14, v26
	s_or_b64 s[16:17], vcc, s[16:17]
	v_or_b32_e32 v25, v13, v25
	s_andn2_b64 exec, exec, s[16:17]
	s_cbranch_execnz .LBB10_188
; %bb.189:                              ;   in Loop: Header=BB10_145 Depth=1
	s_or_b64 exec, exec, s[16:17]
.LBB10_190:                             ;   in Loop: Header=BB10_145 Depth=1
	s_or_b64 exec, exec, s[14:15]
	v_mov_b32_e32 v13, v27
	v_mov_b32_e32 v14, v28
                                        ; implicit-def: $vgpr29
.LBB10_191:                             ;   in Loop: Header=BB10_145 Depth=1
	s_or_saveexec_b64 s[4:5], s[4:5]
	v_mov_b32_e32 v30, 0
	s_xor_b64 exec, exec, s[4:5]
	s_cbranch_execz .LBB10_193
; %bb.192:                              ;   in Loop: Header=BB10_145 Depth=1
	global_load_dwordx2 v[25:26], v[27:28], off
	v_add_u32_e32 v30, -8, v29
.LBB10_193:                             ;   in Loop: Header=BB10_145 Depth=1
	s_or_b64 exec, exec, s[4:5]
	v_cmp_gt_u32_e32 vcc, 8, v30
	s_and_saveexec_b64 s[4:5], vcc
	s_xor_b64 s[4:5], exec, s[4:5]
	s_cbranch_execz .LBB10_199
; %bb.194:                              ;   in Loop: Header=BB10_145 Depth=1
	v_mov_b32_e32 v27, 0
	v_mov_b32_e32 v28, 0
	v_cmp_ne_u32_e32 vcc, 0, v30
	s_and_saveexec_b64 s[14:15], vcc
	s_cbranch_execz .LBB10_198
; %bb.195:                              ;   in Loop: Header=BB10_145 Depth=1
	v_mov_b32_e32 v27, 0
	s_mov_b64 s[16:17], 0
	v_mov_b32_e32 v28, 0
	s_mov_b64 s[18:19], 0
.LBB10_196:                             ;   Parent Loop BB10_145 Depth=1
                                        ; =>  This Inner Loop Header: Depth=2
	global_load_ubyte v29, v[13:14], off
	v_mov_b32_e32 v32, s22
	v_add_co_u32_e32 v13, vcc, 1, v13
	v_add_u32_e32 v30, -1, v30
	v_addc_co_u32_e32 v14, vcc, 0, v14, vcc
	v_cmp_eq_u32_e32 vcc, 0, v30
	s_waitcnt vmcnt(0)
	v_and_b32_e32 v31, 0xffff, v29
	v_lshlrev_b64 v[31:32], s18, v[31:32]
	s_add_u32 s18, s18, 8
	s_addc_u32 s19, s19, 0
	v_or_b32_e32 v28, v32, v28
	s_or_b64 s[16:17], vcc, s[16:17]
	v_or_b32_e32 v27, v31, v27
	s_andn2_b64 exec, exec, s[16:17]
	s_cbranch_execnz .LBB10_196
; %bb.197:                              ;   in Loop: Header=BB10_145 Depth=1
	s_or_b64 exec, exec, s[16:17]
.LBB10_198:                             ;   in Loop: Header=BB10_145 Depth=1
	s_or_b64 exec, exec, s[14:15]
                                        ; implicit-def: $vgpr13_vgpr14
.LBB10_199:                             ;   in Loop: Header=BB10_145 Depth=1
	s_andn2_saveexec_b64 s[4:5], s[4:5]
	s_cbranch_execz .LBB10_201
; %bb.200:                              ;   in Loop: Header=BB10_145 Depth=1
	global_load_dwordx2 v[27:28], v[13:14], off
.LBB10_201:                             ;   in Loop: Header=BB10_145 Depth=1
	s_or_b64 exec, exec, s[4:5]
	v_readfirstlane_b32 s4, v38
	v_mov_b32_e32 v13, 0
	v_mov_b32_e32 v14, 0
	v_cmp_eq_u32_e64 s[4:5], s4, v38
	s_and_saveexec_b64 s[14:15], s[4:5]
	s_cbranch_execz .LBB10_207
; %bb.202:                              ;   in Loop: Header=BB10_145 Depth=1
	global_load_dwordx2 v[31:32], v33, s[10:11] offset:24 glc
	s_waitcnt vmcnt(0)
	buffer_wbinvl1_vol
	global_load_dwordx2 v[13:14], v33, s[10:11] offset:40
	global_load_dwordx2 v[29:30], v33, s[10:11]
	s_waitcnt vmcnt(1)
	v_and_b32_e32 v13, v13, v31
	v_and_b32_e32 v14, v14, v32
	v_mul_lo_u32 v14, v14, 24
	v_mul_hi_u32 v36, v13, 24
	v_mul_lo_u32 v13, v13, 24
	v_add_u32_e32 v14, v36, v14
	s_waitcnt vmcnt(0)
	v_add_co_u32_e32 v13, vcc, v29, v13
	v_addc_co_u32_e32 v14, vcc, v30, v14, vcc
	global_load_dwordx2 v[29:30], v[13:14], off glc
	s_waitcnt vmcnt(0)
	global_atomic_cmpswap_x2 v[13:14], v33, v[29:32], s[10:11] offset:24 glc
	s_waitcnt vmcnt(0)
	buffer_wbinvl1_vol
	v_cmp_ne_u64_e32 vcc, v[13:14], v[31:32]
	s_and_saveexec_b64 s[16:17], vcc
	s_cbranch_execz .LBB10_206
; %bb.203:                              ;   in Loop: Header=BB10_145 Depth=1
	s_mov_b64 s[18:19], 0
.LBB10_204:                             ;   Parent Loop BB10_145 Depth=1
                                        ; =>  This Inner Loop Header: Depth=2
	s_sleep 1
	global_load_dwordx2 v[29:30], v33, s[10:11] offset:40
	global_load_dwordx2 v[36:37], v33, s[10:11]
	v_mov_b32_e32 v32, v14
	v_mov_b32_e32 v31, v13
	s_waitcnt vmcnt(1)
	v_and_b32_e32 v13, v29, v31
	s_waitcnt vmcnt(0)
	v_mad_u64_u32 v[13:14], s[20:21], v13, 24, v[36:37]
	v_and_b32_e32 v29, v30, v32
	v_mad_u64_u32 v[29:30], s[20:21], v29, 24, v[14:15]
	v_mov_b32_e32 v14, v29
	global_load_dwordx2 v[29:30], v[13:14], off glc
	s_waitcnt vmcnt(0)
	global_atomic_cmpswap_x2 v[13:14], v33, v[29:32], s[10:11] offset:24 glc
	s_waitcnt vmcnt(0)
	buffer_wbinvl1_vol
	v_cmp_eq_u64_e32 vcc, v[13:14], v[31:32]
	s_or_b64 s[18:19], vcc, s[18:19]
	s_andn2_b64 exec, exec, s[18:19]
	s_cbranch_execnz .LBB10_204
; %bb.205:                              ;   in Loop: Header=BB10_145 Depth=1
	s_or_b64 exec, exec, s[18:19]
.LBB10_206:                             ;   in Loop: Header=BB10_145 Depth=1
	s_or_b64 exec, exec, s[16:17]
.LBB10_207:                             ;   in Loop: Header=BB10_145 Depth=1
	s_or_b64 exec, exec, s[14:15]
	global_load_dwordx2 v[36:37], v33, s[10:11] offset:40
	global_load_dwordx4 v[29:32], v33, s[10:11]
	v_readfirstlane_b32 s15, v14
	v_readfirstlane_b32 s14, v13
	s_mov_b64 s[16:17], exec
	s_waitcnt vmcnt(1)
	v_readfirstlane_b32 s18, v36
	v_readfirstlane_b32 s19, v37
	s_and_b64 s[18:19], s[18:19], s[14:15]
	s_mul_i32 s20, s19, 24
	s_mul_hi_u32 s21, s18, 24
	s_mul_i32 s24, s18, 24
	s_add_i32 s20, s21, s20
	v_mov_b32_e32 v13, s20
	s_waitcnt vmcnt(0)
	v_add_co_u32_e32 v36, vcc, s24, v29
	v_addc_co_u32_e32 v37, vcc, v30, v13, vcc
	s_and_saveexec_b64 s[20:21], s[4:5]
	s_cbranch_execz .LBB10_209
; %bb.208:                              ;   in Loop: Header=BB10_145 Depth=1
	v_mov_b32_e32 v13, s16
	v_mov_b32_e32 v14, s17
	global_store_dwordx4 v[36:37], v[13:16], off offset:8
.LBB10_209:                             ;   in Loop: Header=BB10_145 Depth=1
	s_or_b64 exec, exec, s[20:21]
	s_lshl_b64 s[16:17], s[18:19], 12
	v_mov_b32_e32 v13, s17
	v_add_co_u32_e32 v31, vcc, s16, v31
	v_addc_co_u32_e32 v49, vcc, v32, v13, vcc
	v_cmp_gt_u64_e32 vcc, 57, v[0:1]
	v_and_b32_e32 v9, 0xffffff1f, v9
	v_cndmask_b32_e32 v13, 0, v48, vcc
	v_lshl_add_u32 v14, v34, 2, 28
	v_or_b32_e32 v9, v9, v13
	v_and_or_b32 v9, v14, s23, v9
	v_readfirstlane_b32 s16, v31
	v_readfirstlane_b32 s17, v49
	s_nop 4
	global_store_dwordx4 v39, v[9:12], s[16:17]
	global_store_dwordx4 v39, v[17:20], s[16:17] offset:16
	global_store_dwordx4 v39, v[21:24], s[16:17] offset:32
	;; [unrolled: 1-line block ×3, first 2 shown]
	s_and_saveexec_b64 s[16:17], s[4:5]
	s_cbranch_execz .LBB10_217
; %bb.210:                              ;   in Loop: Header=BB10_145 Depth=1
	global_load_dwordx2 v[19:20], v33, s[10:11] offset:32 glc
	global_load_dwordx2 v[9:10], v33, s[10:11] offset:40
	v_mov_b32_e32 v17, s14
	v_mov_b32_e32 v18, s15
	s_waitcnt vmcnt(0)
	v_readfirstlane_b32 s18, v9
	v_readfirstlane_b32 s19, v10
	s_and_b64 s[18:19], s[18:19], s[14:15]
	s_mul_i32 s19, s19, 24
	s_mul_hi_u32 s20, s18, 24
	s_mul_i32 s18, s18, 24
	s_add_i32 s19, s20, s19
	v_mov_b32_e32 v9, s19
	v_add_co_u32_e32 v13, vcc, s18, v29
	v_addc_co_u32_e32 v14, vcc, v30, v9, vcc
	global_store_dwordx2 v[13:14], v[19:20], off
	s_waitcnt vmcnt(0)
	global_atomic_cmpswap_x2 v[11:12], v33, v[17:20], s[10:11] offset:32 glc
	s_waitcnt vmcnt(0)
	v_cmp_ne_u64_e32 vcc, v[11:12], v[19:20]
	s_and_saveexec_b64 s[18:19], vcc
	s_cbranch_execz .LBB10_213
; %bb.211:                              ;   in Loop: Header=BB10_145 Depth=1
	s_mov_b64 s[20:21], 0
.LBB10_212:                             ;   Parent Loop BB10_145 Depth=1
                                        ; =>  This Inner Loop Header: Depth=2
	s_sleep 1
	global_store_dwordx2 v[13:14], v[11:12], off
	v_mov_b32_e32 v9, s14
	v_mov_b32_e32 v10, s15
	s_waitcnt vmcnt(0)
	global_atomic_cmpswap_x2 v[9:10], v33, v[9:12], s[10:11] offset:32 glc
	s_waitcnt vmcnt(0)
	v_cmp_eq_u64_e32 vcc, v[9:10], v[11:12]
	v_mov_b32_e32 v12, v10
	s_or_b64 s[20:21], vcc, s[20:21]
	v_mov_b32_e32 v11, v9
	s_andn2_b64 exec, exec, s[20:21]
	s_cbranch_execnz .LBB10_212
.LBB10_213:                             ;   in Loop: Header=BB10_145 Depth=1
	s_or_b64 exec, exec, s[18:19]
	global_load_dwordx2 v[9:10], v33, s[10:11] offset:16
	s_mov_b64 s[20:21], exec
	v_mbcnt_lo_u32_b32 v11, s20, 0
	v_mbcnt_hi_u32_b32 v11, s21, v11
	v_cmp_eq_u32_e32 vcc, 0, v11
	s_and_saveexec_b64 s[18:19], vcc
	s_cbranch_execz .LBB10_215
; %bb.214:                              ;   in Loop: Header=BB10_145 Depth=1
	s_bcnt1_i32_b64 s20, s[20:21]
	v_mov_b32_e32 v32, s20
	s_waitcnt vmcnt(0)
	global_atomic_add_x2 v[9:10], v[32:33], off offset:8
.LBB10_215:                             ;   in Loop: Header=BB10_145 Depth=1
	s_or_b64 exec, exec, s[18:19]
	s_waitcnt vmcnt(0)
	global_load_dwordx2 v[11:12], v[9:10], off offset:16
	s_waitcnt vmcnt(0)
	v_cmp_eq_u64_e32 vcc, 0, v[11:12]
	s_cbranch_vccnz .LBB10_217
; %bb.216:                              ;   in Loop: Header=BB10_145 Depth=1
	global_load_dword v32, v[9:10], off offset:24
	s_waitcnt vmcnt(0)
	v_readfirstlane_b32 s18, v32
	s_and_b32 m0, s18, 0xffffff
	global_store_dwordx2 v[11:12], v[32:33], off
	s_sendmsg sendmsg(MSG_INTERRUPT)
.LBB10_217:                             ;   in Loop: Header=BB10_145 Depth=1
	s_or_b64 exec, exec, s[16:17]
	v_add_co_u32_e32 v9, vcc, v31, v39
	v_addc_co_u32_e32 v10, vcc, 0, v49, vcc
	s_branch .LBB10_221
.LBB10_218:                             ;   in Loop: Header=BB10_221 Depth=2
	s_or_b64 exec, exec, s[16:17]
	v_readfirstlane_b32 s16, v11
	s_cmp_eq_u32 s16, 0
	s_cbranch_scc1 .LBB10_220
; %bb.219:                              ;   in Loop: Header=BB10_221 Depth=2
	s_sleep 1
	s_cbranch_execnz .LBB10_221
	s_branch .LBB10_223
.LBB10_220:                             ;   in Loop: Header=BB10_145 Depth=1
	s_branch .LBB10_223
.LBB10_221:                             ;   Parent Loop BB10_145 Depth=1
                                        ; =>  This Inner Loop Header: Depth=2
	v_mov_b32_e32 v11, 1
	s_and_saveexec_b64 s[16:17], s[4:5]
	s_cbranch_execz .LBB10_218
; %bb.222:                              ;   in Loop: Header=BB10_221 Depth=2
	global_load_dword v11, v[36:37], off offset:20 glc
	s_waitcnt vmcnt(0)
	buffer_wbinvl1_vol
	v_and_b32_e32 v11, 1, v11
	s_branch .LBB10_218
.LBB10_223:                             ;   in Loop: Header=BB10_145 Depth=1
	global_load_dwordx2 v[9:10], v[9:10], off
	s_and_saveexec_b64 s[16:17], s[4:5]
	s_cbranch_execz .LBB10_144
; %bb.224:                              ;   in Loop: Header=BB10_145 Depth=1
	global_load_dwordx2 v[11:12], v33, s[10:11] offset:40
	global_load_dwordx2 v[21:22], v33, s[10:11] offset:24 glc
	global_load_dwordx2 v[13:14], v33, s[10:11]
	s_waitcnt vmcnt(2)
	v_readfirstlane_b32 s18, v11
	v_readfirstlane_b32 s19, v12
	s_add_u32 s20, s18, 1
	s_addc_u32 s21, s19, 0
	s_add_u32 s4, s20, s14
	s_addc_u32 s5, s21, s15
	s_cmp_eq_u64 s[4:5], 0
	s_cselect_b32 s5, s21, s5
	s_cselect_b32 s4, s20, s4
	s_and_b64 s[14:15], s[4:5], s[18:19]
	s_mul_i32 s15, s15, 24
	s_mul_hi_u32 s18, s14, 24
	s_mul_i32 s14, s14, 24
	s_add_i32 s15, s18, s15
	v_mov_b32_e32 v11, s15
	s_waitcnt vmcnt(0)
	v_add_co_u32_e32 v17, vcc, s14, v13
	v_addc_co_u32_e32 v18, vcc, v14, v11, vcc
	v_mov_b32_e32 v19, s4
	global_store_dwordx2 v[17:18], v[21:22], off
	v_mov_b32_e32 v20, s5
	s_waitcnt vmcnt(0)
	global_atomic_cmpswap_x2 v[13:14], v33, v[19:22], s[10:11] offset:24 glc
	s_waitcnt vmcnt(0)
	v_cmp_ne_u64_e32 vcc, v[13:14], v[21:22]
	s_and_b64 exec, exec, vcc
	s_cbranch_execz .LBB10_144
; %bb.225:                              ;   in Loop: Header=BB10_145 Depth=1
	s_mov_b64 s[14:15], 0
.LBB10_226:                             ;   Parent Loop BB10_145 Depth=1
                                        ; =>  This Inner Loop Header: Depth=2
	s_sleep 1
	global_store_dwordx2 v[17:18], v[13:14], off
	v_mov_b32_e32 v11, s4
	v_mov_b32_e32 v12, s5
	s_waitcnt vmcnt(0)
	global_atomic_cmpswap_x2 v[11:12], v33, v[11:14], s[10:11] offset:24 glc
	s_waitcnt vmcnt(0)
	v_cmp_eq_u64_e32 vcc, v[11:12], v[13:14]
	v_mov_b32_e32 v14, v12
	s_or_b64 s[14:15], vcc, s[14:15]
	v_mov_b32_e32 v13, v11
	s_andn2_b64 exec, exec, s[14:15]
	s_cbranch_execnz .LBB10_226
	s_branch .LBB10_144
.LBB10_227:
	s_or_b64 exec, exec, s[12:13]
.LBB10_228:
	s_andn2_saveexec_b64 s[6:7], s[6:7]
	s_cbranch_execz .LBB10_255
; %bb.229:
	v_readfirstlane_b32 s4, v38
	v_mov_b32_e32 v12, 0
	v_mov_b32_e32 v13, 0
	v_cmp_eq_u32_e64 s[4:5], s4, v38
	s_and_saveexec_b64 s[12:13], s[4:5]
	s_cbranch_execz .LBB10_235
; %bb.230:
	v_mov_b32_e32 v0, 0
	global_load_dwordx2 v[14:15], v0, s[10:11] offset:24 glc
	s_waitcnt vmcnt(0)
	buffer_wbinvl1_vol
	global_load_dwordx2 v[1:2], v0, s[10:11] offset:40
	global_load_dwordx2 v[11:12], v0, s[10:11]
	s_waitcnt vmcnt(1)
	v_and_b32_e32 v1, v1, v14
	v_and_b32_e32 v2, v2, v15
	v_mul_lo_u32 v2, v2, 24
	v_mul_hi_u32 v3, v1, 24
	v_mul_lo_u32 v1, v1, 24
	v_add_u32_e32 v2, v3, v2
	s_waitcnt vmcnt(0)
	v_add_co_u32_e32 v1, vcc, v11, v1
	v_addc_co_u32_e32 v2, vcc, v12, v2, vcc
	global_load_dwordx2 v[12:13], v[1:2], off glc
	s_waitcnt vmcnt(0)
	global_atomic_cmpswap_x2 v[12:13], v0, v[12:15], s[10:11] offset:24 glc
	s_waitcnt vmcnt(0)
	buffer_wbinvl1_vol
	v_cmp_ne_u64_e32 vcc, v[12:13], v[14:15]
	s_and_saveexec_b64 s[14:15], vcc
	s_cbranch_execz .LBB10_234
; %bb.231:
	s_mov_b64 s[16:17], 0
.LBB10_232:                             ; =>This Inner Loop Header: Depth=1
	s_sleep 1
	global_load_dwordx2 v[1:2], v0, s[10:11] offset:40
	global_load_dwordx2 v[16:17], v0, s[10:11]
	v_mov_b32_e32 v15, v13
	v_mov_b32_e32 v14, v12
	s_waitcnt vmcnt(1)
	v_and_b32_e32 v1, v1, v14
	s_waitcnt vmcnt(0)
	v_mad_u64_u32 v[11:12], s[18:19], v1, 24, v[16:17]
	v_and_b32_e32 v2, v2, v15
	v_mov_b32_e32 v1, v12
	v_mad_u64_u32 v[1:2], s[18:19], v2, 24, v[1:2]
	v_mov_b32_e32 v12, v1
	global_load_dwordx2 v[12:13], v[11:12], off glc
	s_waitcnt vmcnt(0)
	global_atomic_cmpswap_x2 v[12:13], v0, v[12:15], s[10:11] offset:24 glc
	s_waitcnt vmcnt(0)
	buffer_wbinvl1_vol
	v_cmp_eq_u64_e32 vcc, v[12:13], v[14:15]
	s_or_b64 s[16:17], vcc, s[16:17]
	s_andn2_b64 exec, exec, s[16:17]
	s_cbranch_execnz .LBB10_232
; %bb.233:
	s_or_b64 exec, exec, s[16:17]
.LBB10_234:
	s_or_b64 exec, exec, s[14:15]
.LBB10_235:
	s_or_b64 exec, exec, s[12:13]
	v_mov_b32_e32 v11, 0
	global_load_dwordx2 v[14:15], v11, s[10:11] offset:40
	global_load_dwordx4 v[0:3], v11, s[10:11]
	v_readfirstlane_b32 s13, v13
	v_readfirstlane_b32 s12, v12
	s_mov_b64 s[14:15], exec
	s_waitcnt vmcnt(1)
	v_readfirstlane_b32 s16, v14
	v_readfirstlane_b32 s17, v15
	s_and_b64 s[16:17], s[16:17], s[12:13]
	s_mul_i32 s18, s17, 24
	s_mul_hi_u32 s19, s16, 24
	s_mul_i32 s20, s16, 24
	s_add_i32 s18, s19, s18
	v_mov_b32_e32 v12, s18
	s_waitcnt vmcnt(0)
	v_add_co_u32_e32 v13, vcc, s20, v0
	v_addc_co_u32_e32 v14, vcc, v1, v12, vcc
	s_and_saveexec_b64 s[18:19], s[4:5]
	s_cbranch_execz .LBB10_237
; %bb.236:
	v_mov_b32_e32 v16, s15
	v_mov_b32_e32 v15, s14
	;; [unrolled: 1-line block ×4, first 2 shown]
	global_store_dwordx4 v[13:14], v[15:18], off offset:8
.LBB10_237:
	s_or_b64 exec, exec, s[18:19]
	s_lshl_b64 s[14:15], s[16:17], 12
	v_mov_b32_e32 v12, s15
	v_add_co_u32_e32 v2, vcc, s14, v2
	v_addc_co_u32_e32 v3, vcc, v3, v12, vcc
	s_movk_i32 s14, 0xff1f
	v_and_or_b32 v9, v9, s14, 32
	s_mov_b32 s16, 0
	v_mov_b32_e32 v12, v11
	v_readfirstlane_b32 s14, v2
	v_readfirstlane_b32 s15, v3
	v_add_co_u32_e32 v15, vcc, v2, v39
	s_mov_b32 s17, s16
	s_mov_b32 s18, s16
	;; [unrolled: 1-line block ×3, first 2 shown]
	s_nop 0
	global_store_dwordx4 v39, v[9:12], s[14:15]
	v_addc_co_u32_e32 v16, vcc, 0, v3, vcc
	v_mov_b32_e32 v9, s16
	v_mov_b32_e32 v10, s17
	;; [unrolled: 1-line block ×4, first 2 shown]
	global_store_dwordx4 v39, v[9:12], s[14:15] offset:16
	global_store_dwordx4 v39, v[9:12], s[14:15] offset:32
	;; [unrolled: 1-line block ×3, first 2 shown]
	s_and_saveexec_b64 s[14:15], s[4:5]
	s_cbranch_execz .LBB10_245
; %bb.238:
	v_mov_b32_e32 v11, 0
	global_load_dwordx2 v[19:20], v11, s[10:11] offset:32 glc
	global_load_dwordx2 v[2:3], v11, s[10:11] offset:40
	v_mov_b32_e32 v17, s12
	v_mov_b32_e32 v18, s13
	s_waitcnt vmcnt(0)
	v_readfirstlane_b32 s16, v2
	v_readfirstlane_b32 s17, v3
	s_and_b64 s[16:17], s[16:17], s[12:13]
	s_mul_i32 s17, s17, 24
	s_mul_hi_u32 s18, s16, 24
	s_mul_i32 s16, s16, 24
	s_add_i32 s17, s18, s17
	v_mov_b32_e32 v2, s17
	v_add_co_u32_e32 v9, vcc, s16, v0
	v_addc_co_u32_e32 v10, vcc, v1, v2, vcc
	global_store_dwordx2 v[9:10], v[19:20], off
	s_waitcnt vmcnt(0)
	global_atomic_cmpswap_x2 v[2:3], v11, v[17:20], s[10:11] offset:32 glc
	s_waitcnt vmcnt(0)
	v_cmp_ne_u64_e32 vcc, v[2:3], v[19:20]
	s_and_saveexec_b64 s[16:17], vcc
	s_cbranch_execz .LBB10_241
; %bb.239:
	s_mov_b64 s[18:19], 0
.LBB10_240:                             ; =>This Inner Loop Header: Depth=1
	s_sleep 1
	global_store_dwordx2 v[9:10], v[2:3], off
	v_mov_b32_e32 v0, s12
	v_mov_b32_e32 v1, s13
	s_waitcnt vmcnt(0)
	global_atomic_cmpswap_x2 v[0:1], v11, v[0:3], s[10:11] offset:32 glc
	s_waitcnt vmcnt(0)
	v_cmp_eq_u64_e32 vcc, v[0:1], v[2:3]
	v_mov_b32_e32 v3, v1
	s_or_b64 s[18:19], vcc, s[18:19]
	v_mov_b32_e32 v2, v0
	s_andn2_b64 exec, exec, s[18:19]
	s_cbranch_execnz .LBB10_240
.LBB10_241:
	s_or_b64 exec, exec, s[16:17]
	v_mov_b32_e32 v3, 0
	global_load_dwordx2 v[0:1], v3, s[10:11] offset:16
	s_mov_b64 s[16:17], exec
	v_mbcnt_lo_u32_b32 v2, s16, 0
	v_mbcnt_hi_u32_b32 v2, s17, v2
	v_cmp_eq_u32_e32 vcc, 0, v2
	s_and_saveexec_b64 s[18:19], vcc
	s_cbranch_execz .LBB10_243
; %bb.242:
	s_bcnt1_i32_b64 s16, s[16:17]
	v_mov_b32_e32 v2, s16
	s_waitcnt vmcnt(0)
	global_atomic_add_x2 v[0:1], v[2:3], off offset:8
.LBB10_243:
	s_or_b64 exec, exec, s[18:19]
	s_waitcnt vmcnt(0)
	global_load_dwordx2 v[2:3], v[0:1], off offset:16
	s_waitcnt vmcnt(0)
	v_cmp_eq_u64_e32 vcc, 0, v[2:3]
	s_cbranch_vccnz .LBB10_245
; %bb.244:
	global_load_dword v0, v[0:1], off offset:24
	v_mov_b32_e32 v1, 0
	s_waitcnt vmcnt(0)
	v_readfirstlane_b32 s16, v0
	s_and_b32 m0, s16, 0xffffff
	global_store_dwordx2 v[2:3], v[0:1], off
	s_sendmsg sendmsg(MSG_INTERRUPT)
.LBB10_245:
	s_or_b64 exec, exec, s[14:15]
	s_branch .LBB10_249
.LBB10_246:                             ;   in Loop: Header=BB10_249 Depth=1
	s_or_b64 exec, exec, s[14:15]
	v_readfirstlane_b32 s14, v0
	s_cmp_eq_u32 s14, 0
	s_cbranch_scc1 .LBB10_248
; %bb.247:                              ;   in Loop: Header=BB10_249 Depth=1
	s_sleep 1
	s_cbranch_execnz .LBB10_249
	s_branch .LBB10_251
.LBB10_248:
	s_branch .LBB10_251
.LBB10_249:                             ; =>This Inner Loop Header: Depth=1
	v_mov_b32_e32 v0, 1
	s_and_saveexec_b64 s[14:15], s[4:5]
	s_cbranch_execz .LBB10_246
; %bb.250:                              ;   in Loop: Header=BB10_249 Depth=1
	global_load_dword v0, v[13:14], off offset:20 glc
	s_waitcnt vmcnt(0)
	buffer_wbinvl1_vol
	v_and_b32_e32 v0, 1, v0
	s_branch .LBB10_246
.LBB10_251:
	global_load_dwordx2 v[9:10], v[15:16], off
	s_and_saveexec_b64 s[14:15], s[4:5]
	s_cbranch_execz .LBB10_254
; %bb.252:
	v_mov_b32_e32 v13, 0
	global_load_dwordx2 v[0:1], v13, s[10:11] offset:40
	global_load_dwordx2 v[16:17], v13, s[10:11] offset:24 glc
	global_load_dwordx2 v[2:3], v13, s[10:11]
	s_waitcnt vmcnt(2)
	v_readfirstlane_b32 s16, v0
	v_readfirstlane_b32 s17, v1
	s_add_u32 s18, s16, 1
	s_addc_u32 s19, s17, 0
	s_add_u32 s4, s18, s12
	s_addc_u32 s5, s19, s13
	s_cmp_eq_u64 s[4:5], 0
	s_cselect_b32 s5, s19, s5
	s_cselect_b32 s4, s18, s4
	s_and_b64 s[12:13], s[4:5], s[16:17]
	s_mul_i32 s13, s13, 24
	s_mul_hi_u32 s16, s12, 24
	s_mul_i32 s12, s12, 24
	s_add_i32 s13, s16, s13
	v_mov_b32_e32 v0, s13
	s_waitcnt vmcnt(0)
	v_add_co_u32_e32 v11, vcc, s12, v2
	v_addc_co_u32_e32 v12, vcc, v3, v0, vcc
	v_mov_b32_e32 v14, s4
	global_store_dwordx2 v[11:12], v[16:17], off
	v_mov_b32_e32 v15, s5
	s_waitcnt vmcnt(0)
	global_atomic_cmpswap_x2 v[2:3], v13, v[14:17], s[10:11] offset:24 glc
	s_mov_b64 s[12:13], 0
	s_waitcnt vmcnt(0)
	v_cmp_ne_u64_e32 vcc, v[2:3], v[16:17]
	s_and_b64 exec, exec, vcc
	s_cbranch_execz .LBB10_254
.LBB10_253:                             ; =>This Inner Loop Header: Depth=1
	s_sleep 1
	global_store_dwordx2 v[11:12], v[2:3], off
	v_mov_b32_e32 v0, s4
	v_mov_b32_e32 v1, s5
	s_waitcnt vmcnt(0)
	global_atomic_cmpswap_x2 v[0:1], v13, v[0:3], s[10:11] offset:24 glc
	s_waitcnt vmcnt(0)
	v_cmp_eq_u64_e32 vcc, v[0:1], v[2:3]
	v_mov_b32_e32 v3, v1
	s_or_b64 s[12:13], vcc, s[12:13]
	v_mov_b32_e32 v2, v0
	s_andn2_b64 exec, exec, s[12:13]
	s_cbranch_execnz .LBB10_253
.LBB10_254:
	s_or_b64 exec, exec, s[14:15]
.LBB10_255:
	s_or_b64 exec, exec, s[6:7]
	v_readfirstlane_b32 s4, v38
	v_mov_b32_e32 v13, 0
	v_mov_b32_e32 v14, 0
	v_cmp_eq_u32_e64 s[4:5], s4, v38
	s_and_saveexec_b64 s[6:7], s[4:5]
	s_cbranch_execz .LBB10_261
; %bb.256:
	v_mov_b32_e32 v0, 0
	global_load_dwordx2 v[15:16], v0, s[10:11] offset:24 glc
	s_waitcnt vmcnt(0)
	buffer_wbinvl1_vol
	global_load_dwordx2 v[1:2], v0, s[10:11] offset:40
	global_load_dwordx2 v[11:12], v0, s[10:11]
	s_waitcnt vmcnt(1)
	v_and_b32_e32 v1, v1, v15
	v_and_b32_e32 v2, v2, v16
	v_mul_lo_u32 v2, v2, 24
	v_mul_hi_u32 v3, v1, 24
	v_mul_lo_u32 v1, v1, 24
	v_add_u32_e32 v2, v3, v2
	s_waitcnt vmcnt(0)
	v_add_co_u32_e32 v1, vcc, v11, v1
	v_addc_co_u32_e32 v2, vcc, v12, v2, vcc
	global_load_dwordx2 v[13:14], v[1:2], off glc
	s_waitcnt vmcnt(0)
	global_atomic_cmpswap_x2 v[13:14], v0, v[13:16], s[10:11] offset:24 glc
	s_waitcnt vmcnt(0)
	buffer_wbinvl1_vol
	v_cmp_ne_u64_e32 vcc, v[13:14], v[15:16]
	s_and_saveexec_b64 s[12:13], vcc
	s_cbranch_execz .LBB10_260
; %bb.257:
	s_mov_b64 s[14:15], 0
.LBB10_258:                             ; =>This Inner Loop Header: Depth=1
	s_sleep 1
	global_load_dwordx2 v[1:2], v0, s[10:11] offset:40
	global_load_dwordx2 v[11:12], v0, s[10:11]
	v_mov_b32_e32 v16, v14
	v_mov_b32_e32 v15, v13
	s_waitcnt vmcnt(1)
	v_and_b32_e32 v1, v1, v15
	s_waitcnt vmcnt(0)
	v_mad_u64_u32 v[11:12], s[16:17], v1, 24, v[11:12]
	v_and_b32_e32 v2, v2, v16
	v_mov_b32_e32 v1, v12
	v_mad_u64_u32 v[1:2], s[16:17], v2, 24, v[1:2]
	v_mov_b32_e32 v12, v1
	global_load_dwordx2 v[13:14], v[11:12], off glc
	s_waitcnt vmcnt(0)
	global_atomic_cmpswap_x2 v[13:14], v0, v[13:16], s[10:11] offset:24 glc
	s_waitcnt vmcnt(0)
	buffer_wbinvl1_vol
	v_cmp_eq_u64_e32 vcc, v[13:14], v[15:16]
	s_or_b64 s[14:15], vcc, s[14:15]
	s_andn2_b64 exec, exec, s[14:15]
	s_cbranch_execnz .LBB10_258
; %bb.259:
	s_or_b64 exec, exec, s[14:15]
.LBB10_260:
	s_or_b64 exec, exec, s[12:13]
.LBB10_261:
	s_or_b64 exec, exec, s[6:7]
	v_mov_b32_e32 v12, 0
	global_load_dwordx2 v[15:16], v12, s[10:11] offset:40
	global_load_dwordx4 v[0:3], v12, s[10:11]
	v_readfirstlane_b32 s7, v14
	v_readfirstlane_b32 s6, v13
	s_mov_b64 s[12:13], exec
	s_waitcnt vmcnt(1)
	v_readfirstlane_b32 s14, v15
	v_readfirstlane_b32 s15, v16
	s_and_b64 s[14:15], s[14:15], s[6:7]
	s_mul_i32 s16, s15, 24
	s_mul_hi_u32 s17, s14, 24
	s_mul_i32 s18, s14, 24
	s_add_i32 s16, s17, s16
	v_mov_b32_e32 v11, s16
	s_waitcnt vmcnt(0)
	v_add_co_u32_e32 v13, vcc, s18, v0
	v_addc_co_u32_e32 v14, vcc, v1, v11, vcc
	s_and_saveexec_b64 s[16:17], s[4:5]
	s_cbranch_execz .LBB10_263
; %bb.262:
	v_mov_b32_e32 v16, s13
	v_mov_b32_e32 v15, s12
	v_mov_b32_e32 v17, 2
	v_mov_b32_e32 v18, 1
	global_store_dwordx4 v[13:14], v[15:18], off offset:8
.LBB10_263:
	s_or_b64 exec, exec, s[16:17]
	s_lshl_b64 s[12:13], s[14:15], 12
	v_mov_b32_e32 v11, s13
	v_add_co_u32_e32 v2, vcc, s12, v2
	v_addc_co_u32_e32 v3, vcc, v3, v11, vcc
	s_movk_i32 s12, 0xff1f
	v_and_or_b32 v9, v9, s12, 32
	v_mov_b32_e32 v11, v4
	v_readfirstlane_b32 s16, v2
	v_readfirstlane_b32 s17, v3
	s_mov_b32 s12, 0
	v_add_co_u32_e32 v15, vcc, v2, v39
	s_mov_b32 s13, s12
	s_mov_b32 s14, s12
	s_nop 0
	global_store_dwordx4 v39, v[9:12], s[16:17]
	s_mov_b32 s15, s12
	v_mov_b32_e32 v9, s12
	v_addc_co_u32_e32 v16, vcc, 0, v3, vcc
	v_mov_b32_e32 v10, s13
	v_mov_b32_e32 v11, s14
	;; [unrolled: 1-line block ×3, first 2 shown]
	global_store_dwordx4 v39, v[9:12], s[16:17] offset:16
	global_store_dwordx4 v39, v[9:12], s[16:17] offset:32
	;; [unrolled: 1-line block ×3, first 2 shown]
	s_and_saveexec_b64 s[12:13], s[4:5]
	s_cbranch_execz .LBB10_271
; %bb.264:
	v_mov_b32_e32 v4, 0
	global_load_dwordx2 v[19:20], v4, s[10:11] offset:32 glc
	global_load_dwordx2 v[2:3], v4, s[10:11] offset:40
	v_mov_b32_e32 v17, s6
	v_mov_b32_e32 v18, s7
	s_waitcnt vmcnt(0)
	v_readfirstlane_b32 s14, v2
	v_readfirstlane_b32 s15, v3
	s_and_b64 s[14:15], s[14:15], s[6:7]
	s_mul_i32 s15, s15, 24
	s_mul_hi_u32 s16, s14, 24
	s_mul_i32 s14, s14, 24
	s_add_i32 s15, s16, s15
	v_mov_b32_e32 v2, s15
	v_add_co_u32_e32 v9, vcc, s14, v0
	v_addc_co_u32_e32 v10, vcc, v1, v2, vcc
	global_store_dwordx2 v[9:10], v[19:20], off
	s_waitcnt vmcnt(0)
	global_atomic_cmpswap_x2 v[2:3], v4, v[17:20], s[10:11] offset:32 glc
	s_waitcnt vmcnt(0)
	v_cmp_ne_u64_e32 vcc, v[2:3], v[19:20]
	s_and_saveexec_b64 s[14:15], vcc
	s_cbranch_execz .LBB10_267
; %bb.265:
	s_mov_b64 s[16:17], 0
.LBB10_266:                             ; =>This Inner Loop Header: Depth=1
	s_sleep 1
	global_store_dwordx2 v[9:10], v[2:3], off
	v_mov_b32_e32 v0, s6
	v_mov_b32_e32 v1, s7
	s_waitcnt vmcnt(0)
	global_atomic_cmpswap_x2 v[0:1], v4, v[0:3], s[10:11] offset:32 glc
	s_waitcnt vmcnt(0)
	v_cmp_eq_u64_e32 vcc, v[0:1], v[2:3]
	v_mov_b32_e32 v3, v1
	s_or_b64 s[16:17], vcc, s[16:17]
	v_mov_b32_e32 v2, v0
	s_andn2_b64 exec, exec, s[16:17]
	s_cbranch_execnz .LBB10_266
.LBB10_267:
	s_or_b64 exec, exec, s[14:15]
	v_mov_b32_e32 v3, 0
	global_load_dwordx2 v[0:1], v3, s[10:11] offset:16
	s_mov_b64 s[14:15], exec
	v_mbcnt_lo_u32_b32 v2, s14, 0
	v_mbcnt_hi_u32_b32 v2, s15, v2
	v_cmp_eq_u32_e32 vcc, 0, v2
	s_and_saveexec_b64 s[16:17], vcc
	s_cbranch_execz .LBB10_269
; %bb.268:
	s_bcnt1_i32_b64 s14, s[14:15]
	v_mov_b32_e32 v2, s14
	s_waitcnt vmcnt(0)
	global_atomic_add_x2 v[0:1], v[2:3], off offset:8
.LBB10_269:
	s_or_b64 exec, exec, s[16:17]
	s_waitcnt vmcnt(0)
	global_load_dwordx2 v[2:3], v[0:1], off offset:16
	s_waitcnt vmcnt(0)
	v_cmp_eq_u64_e32 vcc, 0, v[2:3]
	s_cbranch_vccnz .LBB10_271
; %bb.270:
	global_load_dword v0, v[0:1], off offset:24
	v_mov_b32_e32 v1, 0
	s_waitcnt vmcnt(0)
	v_readfirstlane_b32 s14, v0
	s_and_b32 m0, s14, 0xffffff
	global_store_dwordx2 v[2:3], v[0:1], off
	s_sendmsg sendmsg(MSG_INTERRUPT)
.LBB10_271:
	s_or_b64 exec, exec, s[12:13]
	s_branch .LBB10_275
.LBB10_272:                             ;   in Loop: Header=BB10_275 Depth=1
	s_or_b64 exec, exec, s[12:13]
	v_readfirstlane_b32 s12, v0
	s_cmp_eq_u32 s12, 0
	s_cbranch_scc1 .LBB10_274
; %bb.273:                              ;   in Loop: Header=BB10_275 Depth=1
	s_sleep 1
	s_cbranch_execnz .LBB10_275
	s_branch .LBB10_277
.LBB10_274:
	s_branch .LBB10_277
.LBB10_275:                             ; =>This Inner Loop Header: Depth=1
	v_mov_b32_e32 v0, 1
	s_and_saveexec_b64 s[12:13], s[4:5]
	s_cbranch_execz .LBB10_272
; %bb.276:                              ;   in Loop: Header=BB10_275 Depth=1
	global_load_dword v0, v[13:14], off offset:20 glc
	s_waitcnt vmcnt(0)
	buffer_wbinvl1_vol
	v_and_b32_e32 v0, 1, v0
	s_branch .LBB10_272
.LBB10_277:
	global_load_dwordx2 v[0:1], v[15:16], off
	s_and_saveexec_b64 s[12:13], s[4:5]
	s_cbranch_execz .LBB10_280
; %bb.278:
	v_mov_b32_e32 v4, 0
	global_load_dwordx2 v[2:3], v4, s[10:11] offset:40
	global_load_dwordx2 v[13:14], v4, s[10:11] offset:24 glc
	global_load_dwordx2 v[9:10], v4, s[10:11]
	s_waitcnt vmcnt(2)
	v_readfirstlane_b32 s14, v2
	v_readfirstlane_b32 s15, v3
	s_add_u32 s16, s14, 1
	s_addc_u32 s17, s15, 0
	s_add_u32 s4, s16, s6
	s_addc_u32 s5, s17, s7
	s_cmp_eq_u64 s[4:5], 0
	s_cselect_b32 s5, s17, s5
	s_cselect_b32 s4, s16, s4
	s_and_b64 s[6:7], s[4:5], s[14:15]
	s_mul_i32 s7, s7, 24
	s_mul_hi_u32 s14, s6, 24
	s_mul_i32 s6, s6, 24
	s_add_i32 s7, s14, s7
	v_mov_b32_e32 v3, s7
	s_waitcnt vmcnt(0)
	v_add_co_u32_e32 v2, vcc, s6, v9
	v_addc_co_u32_e32 v3, vcc, v10, v3, vcc
	v_mov_b32_e32 v11, s4
	global_store_dwordx2 v[2:3], v[13:14], off
	v_mov_b32_e32 v12, s5
	s_waitcnt vmcnt(0)
	global_atomic_cmpswap_x2 v[11:12], v4, v[11:14], s[10:11] offset:24 glc
	s_mov_b64 s[6:7], 0
	s_waitcnt vmcnt(0)
	v_cmp_ne_u64_e32 vcc, v[11:12], v[13:14]
	s_and_b64 exec, exec, vcc
	s_cbranch_execz .LBB10_280
.LBB10_279:                             ; =>This Inner Loop Header: Depth=1
	s_sleep 1
	global_store_dwordx2 v[2:3], v[11:12], off
	v_mov_b32_e32 v9, s4
	v_mov_b32_e32 v10, s5
	s_waitcnt vmcnt(0)
	global_atomic_cmpswap_x2 v[9:10], v4, v[9:12], s[10:11] offset:24 glc
	s_waitcnt vmcnt(0)
	v_cmp_eq_u64_e32 vcc, v[9:10], v[11:12]
	v_mov_b32_e32 v12, v10
	s_or_b64 s[6:7], vcc, s[6:7]
	v_mov_b32_e32 v11, v9
	s_andn2_b64 exec, exec, s[6:7]
	s_cbranch_execnz .LBB10_279
.LBB10_280:
	s_or_b64 exec, exec, s[12:13]
	v_mov_b32_e32 v3, v5
	s_mov_b64 s[4:5], 0
	v_mov_b32_e32 v4, v6
.LBB10_281:                             ; =>This Inner Loop Header: Depth=1
	global_load_ubyte v9, v[3:4], off
	v_add_co_u32_e32 v2, vcc, 1, v3
	v_addc_co_u32_e32 v3, vcc, 0, v4, vcc
	v_mov_b32_e32 v4, v3
	v_mov_b32_e32 v3, v2
	s_waitcnt vmcnt(0)
	v_cmp_eq_u16_e32 vcc, 0, v9
	s_or_b64 s[4:5], vcc, s[4:5]
	s_andn2_b64 exec, exec, s[4:5]
	s_cbranch_execnz .LBB10_281
; %bb.282:
	s_or_b64 exec, exec, s[4:5]
	v_cmp_ne_u64_e32 vcc, 0, v[5:6]
	s_mov_b64 s[12:13], 0
	s_and_saveexec_b64 s[4:5], vcc
	s_xor_b64 s[6:7], exec, s[4:5]
	s_cbranch_execz .LBB10_368
; %bb.283:
	v_sub_u32_e32 v29, v2, v5
	v_ashrrev_i32_e32 v30, 31, v29
	v_and_b32_e32 v35, 2, v0
	v_mov_b32_e32 v4, 0
	v_and_b32_e32 v0, -3, v0
	s_mov_b32 s22, 0
	s_movk_i32 s23, 0x1e0
	v_mov_b32_e32 v11, 2
	v_mov_b32_e32 v12, 1
	s_branch .LBB10_285
.LBB10_284:                             ;   in Loop: Header=BB10_285 Depth=1
	s_or_b64 exec, exec, s[16:17]
	v_sub_co_u32_e32 v29, vcc, v29, v31
	v_subb_co_u32_e32 v30, vcc, v30, v32, vcc
	v_cmp_eq_u64_e32 vcc, 0, v[29:30]
	s_or_b64 s[12:13], vcc, s[12:13]
	v_add_co_u32_e32 v5, vcc, v5, v31
	v_addc_co_u32_e32 v6, vcc, v6, v32, vcc
	s_andn2_b64 exec, exec, s[12:13]
	s_cbranch_execz .LBB10_367
.LBB10_285:                             ; =>This Loop Header: Depth=1
                                        ;     Child Loop BB10_288 Depth 2
                                        ;     Child Loop BB10_296 Depth 2
	;; [unrolled: 1-line block ×11, first 2 shown]
	v_cmp_gt_u64_e32 vcc, 56, v[29:30]
	v_add_co_u32_e64 v15, s[4:5], 8, v5
	v_cndmask_b32_e32 v32, 0, v30, vcc
	v_cndmask_b32_e32 v31, 56, v29, vcc
	v_cmp_gt_u64_e32 vcc, 8, v[29:30]
	v_addc_co_u32_e64 v16, s[4:5], 0, v6, s[4:5]
	s_and_saveexec_b64 s[4:5], vcc
	s_xor_b64 s[4:5], exec, s[4:5]
	s_cbranch_execz .LBB10_291
; %bb.286:                              ;   in Loop: Header=BB10_285 Depth=1
	v_mov_b32_e32 v2, 0
	v_cmp_ne_u64_e32 vcc, 0, v[29:30]
	v_mov_b32_e32 v3, 0
	s_and_saveexec_b64 s[14:15], vcc
	s_cbranch_execz .LBB10_290
; %bb.287:                              ;   in Loop: Header=BB10_285 Depth=1
	v_lshlrev_b64 v[9:10], 3, v[31:32]
	v_mov_b32_e32 v2, 0
	v_mov_b32_e32 v14, v6
	s_mov_b64 s[16:17], 0
	v_mov_b32_e32 v3, 0
	v_mov_b32_e32 v13, v5
	s_mov_b64 s[18:19], 0
.LBB10_288:                             ;   Parent Loop BB10_285 Depth=1
                                        ; =>  This Inner Loop Header: Depth=2
	global_load_ubyte v10, v[13:14], off
	v_mov_b32_e32 v16, s22
	v_add_co_u32_e32 v13, vcc, 1, v13
	v_addc_co_u32_e32 v14, vcc, 0, v14, vcc
	s_waitcnt vmcnt(0)
	v_and_b32_e32 v15, 0xffff, v10
	v_lshlrev_b64 v[15:16], s18, v[15:16]
	s_add_u32 s18, s18, 8
	s_addc_u32 s19, s19, 0
	v_cmp_eq_u32_e32 vcc, s18, v9
	v_or_b32_e32 v3, v16, v3
	s_or_b64 s[16:17], vcc, s[16:17]
	v_or_b32_e32 v2, v15, v2
	s_andn2_b64 exec, exec, s[16:17]
	s_cbranch_execnz .LBB10_288
; %bb.289:                              ;   in Loop: Header=BB10_285 Depth=1
	s_or_b64 exec, exec, s[16:17]
.LBB10_290:                             ;   in Loop: Header=BB10_285 Depth=1
	s_or_b64 exec, exec, s[14:15]
	v_mov_b32_e32 v16, v6
	v_mov_b32_e32 v15, v5
.LBB10_291:                             ;   in Loop: Header=BB10_285 Depth=1
	s_or_saveexec_b64 s[4:5], s[4:5]
	v_mov_b32_e32 v17, 0
	s_xor_b64 exec, exec, s[4:5]
	s_cbranch_execz .LBB10_293
; %bb.292:                              ;   in Loop: Header=BB10_285 Depth=1
	global_load_dwordx2 v[2:3], v[5:6], off
	v_add_u32_e32 v17, -8, v31
.LBB10_293:                             ;   in Loop: Header=BB10_285 Depth=1
	s_or_b64 exec, exec, s[4:5]
	v_add_co_u32_e64 v9, s[4:5], 8, v15
	v_cmp_gt_u32_e32 vcc, 8, v17
	v_addc_co_u32_e64 v10, s[4:5], 0, v16, s[4:5]
                                        ; implicit-def: $vgpr13_vgpr14
	s_and_saveexec_b64 s[4:5], vcc
	s_xor_b64 s[4:5], exec, s[4:5]
	s_cbranch_execz .LBB10_299
; %bb.294:                              ;   in Loop: Header=BB10_285 Depth=1
	v_mov_b32_e32 v13, 0
	v_mov_b32_e32 v14, 0
	v_cmp_ne_u32_e32 vcc, 0, v17
	s_and_saveexec_b64 s[14:15], vcc
	s_cbranch_execz .LBB10_298
; %bb.295:                              ;   in Loop: Header=BB10_285 Depth=1
	v_mov_b32_e32 v13, 0
	s_mov_b64 s[16:17], 0
	v_mov_b32_e32 v14, 0
	s_mov_b64 s[18:19], 0
	s_mov_b64 s[20:21], 0
.LBB10_296:                             ;   Parent Loop BB10_285 Depth=1
                                        ; =>  This Inner Loop Header: Depth=2
	v_mov_b32_e32 v10, s21
	v_add_co_u32_e32 v9, vcc, s20, v15
	v_addc_co_u32_e32 v10, vcc, v16, v10, vcc
	global_load_ubyte v9, v[9:10], off
	s_add_u32 s20, s20, 1
	v_mov_b32_e32 v10, s22
	s_addc_u32 s21, s21, 0
	v_cmp_eq_u32_e32 vcc, s20, v17
	s_waitcnt vmcnt(0)
	v_and_b32_e32 v9, 0xffff, v9
	v_lshlrev_b64 v[9:10], s18, v[9:10]
	s_add_u32 s18, s18, 8
	s_addc_u32 s19, s19, 0
	v_or_b32_e32 v14, v10, v14
	s_or_b64 s[16:17], vcc, s[16:17]
	v_or_b32_e32 v13, v9, v13
	s_andn2_b64 exec, exec, s[16:17]
	s_cbranch_execnz .LBB10_296
; %bb.297:                              ;   in Loop: Header=BB10_285 Depth=1
	s_or_b64 exec, exec, s[16:17]
.LBB10_298:                             ;   in Loop: Header=BB10_285 Depth=1
	s_or_b64 exec, exec, s[14:15]
	v_mov_b32_e32 v9, v15
	v_mov_b32_e32 v10, v16
                                        ; implicit-def: $vgpr17
.LBB10_299:                             ;   in Loop: Header=BB10_285 Depth=1
	s_or_saveexec_b64 s[4:5], s[4:5]
	v_mov_b32_e32 v18, 0
	s_xor_b64 exec, exec, s[4:5]
	s_cbranch_execz .LBB10_301
; %bb.300:                              ;   in Loop: Header=BB10_285 Depth=1
	global_load_dwordx2 v[13:14], v[15:16], off
	v_add_u32_e32 v18, -8, v17
.LBB10_301:                             ;   in Loop: Header=BB10_285 Depth=1
	s_or_b64 exec, exec, s[4:5]
	v_add_co_u32_e64 v19, s[4:5], 8, v9
	v_cmp_gt_u32_e32 vcc, 8, v18
	v_addc_co_u32_e64 v20, s[4:5], 0, v10, s[4:5]
	s_and_saveexec_b64 s[4:5], vcc
	s_xor_b64 s[4:5], exec, s[4:5]
	s_cbranch_execz .LBB10_307
; %bb.302:                              ;   in Loop: Header=BB10_285 Depth=1
	v_mov_b32_e32 v15, 0
	v_mov_b32_e32 v16, 0
	v_cmp_ne_u32_e32 vcc, 0, v18
	s_and_saveexec_b64 s[14:15], vcc
	s_cbranch_execz .LBB10_306
; %bb.303:                              ;   in Loop: Header=BB10_285 Depth=1
	v_mov_b32_e32 v15, 0
	s_mov_b64 s[16:17], 0
	v_mov_b32_e32 v16, 0
	s_mov_b64 s[18:19], 0
	s_mov_b64 s[20:21], 0
.LBB10_304:                             ;   Parent Loop BB10_285 Depth=1
                                        ; =>  This Inner Loop Header: Depth=2
	v_mov_b32_e32 v17, s21
	v_add_co_u32_e32 v19, vcc, s20, v9
	v_addc_co_u32_e32 v20, vcc, v10, v17, vcc
	global_load_ubyte v17, v[19:20], off
	s_add_u32 s20, s20, 1
	v_mov_b32_e32 v20, s22
	s_addc_u32 s21, s21, 0
	v_cmp_eq_u32_e32 vcc, s20, v18
	s_waitcnt vmcnt(0)
	v_and_b32_e32 v19, 0xffff, v17
	v_lshlrev_b64 v[19:20], s18, v[19:20]
	s_add_u32 s18, s18, 8
	s_addc_u32 s19, s19, 0
	v_or_b32_e32 v16, v20, v16
	s_or_b64 s[16:17], vcc, s[16:17]
	v_or_b32_e32 v15, v19, v15
	s_andn2_b64 exec, exec, s[16:17]
	s_cbranch_execnz .LBB10_304
; %bb.305:                              ;   in Loop: Header=BB10_285 Depth=1
	s_or_b64 exec, exec, s[16:17]
.LBB10_306:                             ;   in Loop: Header=BB10_285 Depth=1
	s_or_b64 exec, exec, s[14:15]
	v_mov_b32_e32 v20, v10
	v_mov_b32_e32 v19, v9
                                        ; implicit-def: $vgpr18
.LBB10_307:                             ;   in Loop: Header=BB10_285 Depth=1
	s_or_saveexec_b64 s[4:5], s[4:5]
	v_mov_b32_e32 v21, 0
	s_xor_b64 exec, exec, s[4:5]
	s_cbranch_execz .LBB10_309
; %bb.308:                              ;   in Loop: Header=BB10_285 Depth=1
	global_load_dwordx2 v[15:16], v[9:10], off
	v_add_u32_e32 v21, -8, v18
.LBB10_309:                             ;   in Loop: Header=BB10_285 Depth=1
	s_or_b64 exec, exec, s[4:5]
	v_add_co_u32_e64 v9, s[4:5], 8, v19
	v_cmp_gt_u32_e32 vcc, 8, v21
	v_addc_co_u32_e64 v10, s[4:5], 0, v20, s[4:5]
                                        ; implicit-def: $vgpr17_vgpr18
	s_and_saveexec_b64 s[4:5], vcc
	s_xor_b64 s[4:5], exec, s[4:5]
	s_cbranch_execz .LBB10_315
; %bb.310:                              ;   in Loop: Header=BB10_285 Depth=1
	v_mov_b32_e32 v17, 0
	v_mov_b32_e32 v18, 0
	v_cmp_ne_u32_e32 vcc, 0, v21
	s_and_saveexec_b64 s[14:15], vcc
	s_cbranch_execz .LBB10_314
; %bb.311:                              ;   in Loop: Header=BB10_285 Depth=1
	v_mov_b32_e32 v17, 0
	s_mov_b64 s[16:17], 0
	v_mov_b32_e32 v18, 0
	s_mov_b64 s[18:19], 0
	s_mov_b64 s[20:21], 0
.LBB10_312:                             ;   Parent Loop BB10_285 Depth=1
                                        ; =>  This Inner Loop Header: Depth=2
	v_mov_b32_e32 v10, s21
	v_add_co_u32_e32 v9, vcc, s20, v19
	v_addc_co_u32_e32 v10, vcc, v20, v10, vcc
	global_load_ubyte v9, v[9:10], off
	s_add_u32 s20, s20, 1
	v_mov_b32_e32 v10, s22
	s_addc_u32 s21, s21, 0
	v_cmp_eq_u32_e32 vcc, s20, v21
	s_waitcnt vmcnt(0)
	v_and_b32_e32 v9, 0xffff, v9
	v_lshlrev_b64 v[9:10], s18, v[9:10]
	s_add_u32 s18, s18, 8
	s_addc_u32 s19, s19, 0
	v_or_b32_e32 v18, v10, v18
	s_or_b64 s[16:17], vcc, s[16:17]
	v_or_b32_e32 v17, v9, v17
	s_andn2_b64 exec, exec, s[16:17]
	s_cbranch_execnz .LBB10_312
; %bb.313:                              ;   in Loop: Header=BB10_285 Depth=1
	s_or_b64 exec, exec, s[16:17]
.LBB10_314:                             ;   in Loop: Header=BB10_285 Depth=1
	s_or_b64 exec, exec, s[14:15]
	v_mov_b32_e32 v9, v19
	v_mov_b32_e32 v10, v20
                                        ; implicit-def: $vgpr21
.LBB10_315:                             ;   in Loop: Header=BB10_285 Depth=1
	s_or_saveexec_b64 s[4:5], s[4:5]
	v_mov_b32_e32 v22, 0
	s_xor_b64 exec, exec, s[4:5]
	s_cbranch_execz .LBB10_317
; %bb.316:                              ;   in Loop: Header=BB10_285 Depth=1
	global_load_dwordx2 v[17:18], v[19:20], off
	v_add_u32_e32 v22, -8, v21
.LBB10_317:                             ;   in Loop: Header=BB10_285 Depth=1
	s_or_b64 exec, exec, s[4:5]
	v_add_co_u32_e64 v23, s[4:5], 8, v9
	v_cmp_gt_u32_e32 vcc, 8, v22
	v_addc_co_u32_e64 v24, s[4:5], 0, v10, s[4:5]
	s_and_saveexec_b64 s[4:5], vcc
	s_xor_b64 s[4:5], exec, s[4:5]
	s_cbranch_execz .LBB10_323
; %bb.318:                              ;   in Loop: Header=BB10_285 Depth=1
	v_mov_b32_e32 v19, 0
	v_mov_b32_e32 v20, 0
	v_cmp_ne_u32_e32 vcc, 0, v22
	s_and_saveexec_b64 s[14:15], vcc
	s_cbranch_execz .LBB10_322
; %bb.319:                              ;   in Loop: Header=BB10_285 Depth=1
	v_mov_b32_e32 v19, 0
	s_mov_b64 s[16:17], 0
	v_mov_b32_e32 v20, 0
	s_mov_b64 s[18:19], 0
	s_mov_b64 s[20:21], 0
.LBB10_320:                             ;   Parent Loop BB10_285 Depth=1
                                        ; =>  This Inner Loop Header: Depth=2
	v_mov_b32_e32 v21, s21
	v_add_co_u32_e32 v23, vcc, s20, v9
	v_addc_co_u32_e32 v24, vcc, v10, v21, vcc
	global_load_ubyte v21, v[23:24], off
	s_add_u32 s20, s20, 1
	v_mov_b32_e32 v24, s22
	s_addc_u32 s21, s21, 0
	v_cmp_eq_u32_e32 vcc, s20, v22
	s_waitcnt vmcnt(0)
	v_and_b32_e32 v23, 0xffff, v21
	v_lshlrev_b64 v[23:24], s18, v[23:24]
	s_add_u32 s18, s18, 8
	s_addc_u32 s19, s19, 0
	v_or_b32_e32 v20, v24, v20
	s_or_b64 s[16:17], vcc, s[16:17]
	v_or_b32_e32 v19, v23, v19
	s_andn2_b64 exec, exec, s[16:17]
	s_cbranch_execnz .LBB10_320
; %bb.321:                              ;   in Loop: Header=BB10_285 Depth=1
	s_or_b64 exec, exec, s[16:17]
.LBB10_322:                             ;   in Loop: Header=BB10_285 Depth=1
	s_or_b64 exec, exec, s[14:15]
	v_mov_b32_e32 v24, v10
	v_mov_b32_e32 v23, v9
                                        ; implicit-def: $vgpr22
.LBB10_323:                             ;   in Loop: Header=BB10_285 Depth=1
	s_or_saveexec_b64 s[4:5], s[4:5]
	v_mov_b32_e32 v25, 0
	s_xor_b64 exec, exec, s[4:5]
	s_cbranch_execz .LBB10_325
; %bb.324:                              ;   in Loop: Header=BB10_285 Depth=1
	global_load_dwordx2 v[19:20], v[9:10], off
	v_add_u32_e32 v25, -8, v22
.LBB10_325:                             ;   in Loop: Header=BB10_285 Depth=1
	s_or_b64 exec, exec, s[4:5]
	v_add_co_u32_e64 v9, s[4:5], 8, v23
	v_cmp_gt_u32_e32 vcc, 8, v25
	v_addc_co_u32_e64 v10, s[4:5], 0, v24, s[4:5]
                                        ; implicit-def: $vgpr21_vgpr22
	s_and_saveexec_b64 s[4:5], vcc
	s_xor_b64 s[4:5], exec, s[4:5]
	s_cbranch_execz .LBB10_331
; %bb.326:                              ;   in Loop: Header=BB10_285 Depth=1
	v_mov_b32_e32 v21, 0
	v_mov_b32_e32 v22, 0
	v_cmp_ne_u32_e32 vcc, 0, v25
	s_and_saveexec_b64 s[14:15], vcc
	s_cbranch_execz .LBB10_330
; %bb.327:                              ;   in Loop: Header=BB10_285 Depth=1
	v_mov_b32_e32 v21, 0
	s_mov_b64 s[16:17], 0
	v_mov_b32_e32 v22, 0
	s_mov_b64 s[18:19], 0
	s_mov_b64 s[20:21], 0
.LBB10_328:                             ;   Parent Loop BB10_285 Depth=1
                                        ; =>  This Inner Loop Header: Depth=2
	v_mov_b32_e32 v10, s21
	v_add_co_u32_e32 v9, vcc, s20, v23
	v_addc_co_u32_e32 v10, vcc, v24, v10, vcc
	global_load_ubyte v9, v[9:10], off
	s_add_u32 s20, s20, 1
	v_mov_b32_e32 v10, s22
	s_addc_u32 s21, s21, 0
	v_cmp_eq_u32_e32 vcc, s20, v25
	s_waitcnt vmcnt(0)
	v_and_b32_e32 v9, 0xffff, v9
	v_lshlrev_b64 v[9:10], s18, v[9:10]
	s_add_u32 s18, s18, 8
	s_addc_u32 s19, s19, 0
	v_or_b32_e32 v22, v10, v22
	s_or_b64 s[16:17], vcc, s[16:17]
	v_or_b32_e32 v21, v9, v21
	s_andn2_b64 exec, exec, s[16:17]
	s_cbranch_execnz .LBB10_328
; %bb.329:                              ;   in Loop: Header=BB10_285 Depth=1
	s_or_b64 exec, exec, s[16:17]
.LBB10_330:                             ;   in Loop: Header=BB10_285 Depth=1
	s_or_b64 exec, exec, s[14:15]
	v_mov_b32_e32 v9, v23
	v_mov_b32_e32 v10, v24
                                        ; implicit-def: $vgpr25
.LBB10_331:                             ;   in Loop: Header=BB10_285 Depth=1
	s_or_saveexec_b64 s[4:5], s[4:5]
	v_mov_b32_e32 v26, 0
	s_xor_b64 exec, exec, s[4:5]
	s_cbranch_execz .LBB10_333
; %bb.332:                              ;   in Loop: Header=BB10_285 Depth=1
	global_load_dwordx2 v[21:22], v[23:24], off
	v_add_u32_e32 v26, -8, v25
.LBB10_333:                             ;   in Loop: Header=BB10_285 Depth=1
	s_or_b64 exec, exec, s[4:5]
	v_cmp_gt_u32_e32 vcc, 8, v26
	s_and_saveexec_b64 s[4:5], vcc
	s_xor_b64 s[4:5], exec, s[4:5]
	s_cbranch_execz .LBB10_339
; %bb.334:                              ;   in Loop: Header=BB10_285 Depth=1
	v_mov_b32_e32 v23, 0
	v_mov_b32_e32 v24, 0
	v_cmp_ne_u32_e32 vcc, 0, v26
	s_and_saveexec_b64 s[14:15], vcc
	s_cbranch_execz .LBB10_338
; %bb.335:                              ;   in Loop: Header=BB10_285 Depth=1
	v_mov_b32_e32 v23, 0
	s_mov_b64 s[16:17], 0
	v_mov_b32_e32 v24, 0
	s_mov_b64 s[18:19], 0
.LBB10_336:                             ;   Parent Loop BB10_285 Depth=1
                                        ; =>  This Inner Loop Header: Depth=2
	global_load_ubyte v25, v[9:10], off
	v_mov_b32_e32 v28, s22
	v_add_co_u32_e32 v9, vcc, 1, v9
	v_add_u32_e32 v26, -1, v26
	v_addc_co_u32_e32 v10, vcc, 0, v10, vcc
	v_cmp_eq_u32_e32 vcc, 0, v26
	s_waitcnt vmcnt(0)
	v_and_b32_e32 v27, 0xffff, v25
	v_lshlrev_b64 v[27:28], s18, v[27:28]
	s_add_u32 s18, s18, 8
	s_addc_u32 s19, s19, 0
	v_or_b32_e32 v24, v28, v24
	s_or_b64 s[16:17], vcc, s[16:17]
	v_or_b32_e32 v23, v27, v23
	s_andn2_b64 exec, exec, s[16:17]
	s_cbranch_execnz .LBB10_336
; %bb.337:                              ;   in Loop: Header=BB10_285 Depth=1
	s_or_b64 exec, exec, s[16:17]
.LBB10_338:                             ;   in Loop: Header=BB10_285 Depth=1
	s_or_b64 exec, exec, s[14:15]
                                        ; implicit-def: $vgpr9_vgpr10
.LBB10_339:                             ;   in Loop: Header=BB10_285 Depth=1
	s_andn2_saveexec_b64 s[4:5], s[4:5]
	s_cbranch_execz .LBB10_341
; %bb.340:                              ;   in Loop: Header=BB10_285 Depth=1
	global_load_dwordx2 v[23:24], v[9:10], off
.LBB10_341:                             ;   in Loop: Header=BB10_285 Depth=1
	s_or_b64 exec, exec, s[4:5]
	v_readfirstlane_b32 s4, v38
	v_mov_b32_e32 v9, 0
	v_mov_b32_e32 v10, 0
	v_cmp_eq_u32_e64 s[4:5], s4, v38
	s_and_saveexec_b64 s[14:15], s[4:5]
	s_cbranch_execz .LBB10_347
; %bb.342:                              ;   in Loop: Header=BB10_285 Depth=1
	global_load_dwordx2 v[27:28], v4, s[10:11] offset:24 glc
	s_waitcnt vmcnt(0)
	buffer_wbinvl1_vol
	global_load_dwordx2 v[9:10], v4, s[10:11] offset:40
	global_load_dwordx2 v[25:26], v4, s[10:11]
	s_waitcnt vmcnt(1)
	v_and_b32_e32 v9, v9, v27
	v_and_b32_e32 v10, v10, v28
	v_mul_lo_u32 v10, v10, 24
	v_mul_hi_u32 v33, v9, 24
	v_mul_lo_u32 v9, v9, 24
	v_add_u32_e32 v10, v33, v10
	s_waitcnt vmcnt(0)
	v_add_co_u32_e32 v9, vcc, v25, v9
	v_addc_co_u32_e32 v10, vcc, v26, v10, vcc
	global_load_dwordx2 v[25:26], v[9:10], off glc
	s_waitcnt vmcnt(0)
	global_atomic_cmpswap_x2 v[9:10], v4, v[25:28], s[10:11] offset:24 glc
	s_waitcnt vmcnt(0)
	buffer_wbinvl1_vol
	v_cmp_ne_u64_e32 vcc, v[9:10], v[27:28]
	s_and_saveexec_b64 s[16:17], vcc
	s_cbranch_execz .LBB10_346
; %bb.343:                              ;   in Loop: Header=BB10_285 Depth=1
	s_mov_b64 s[18:19], 0
.LBB10_344:                             ;   Parent Loop BB10_285 Depth=1
                                        ; =>  This Inner Loop Header: Depth=2
	s_sleep 1
	global_load_dwordx2 v[25:26], v4, s[10:11] offset:40
	global_load_dwordx2 v[33:34], v4, s[10:11]
	v_mov_b32_e32 v28, v10
	v_mov_b32_e32 v27, v9
	s_waitcnt vmcnt(1)
	v_and_b32_e32 v9, v25, v27
	s_waitcnt vmcnt(0)
	v_mad_u64_u32 v[9:10], s[20:21], v9, 24, v[33:34]
	v_and_b32_e32 v25, v26, v28
	v_mad_u64_u32 v[25:26], s[20:21], v25, 24, v[10:11]
	v_mov_b32_e32 v10, v25
	global_load_dwordx2 v[25:26], v[9:10], off glc
	s_waitcnt vmcnt(0)
	global_atomic_cmpswap_x2 v[9:10], v4, v[25:28], s[10:11] offset:24 glc
	s_waitcnt vmcnt(0)
	buffer_wbinvl1_vol
	v_cmp_eq_u64_e32 vcc, v[9:10], v[27:28]
	s_or_b64 s[18:19], vcc, s[18:19]
	s_andn2_b64 exec, exec, s[18:19]
	s_cbranch_execnz .LBB10_344
; %bb.345:                              ;   in Loop: Header=BB10_285 Depth=1
	s_or_b64 exec, exec, s[18:19]
.LBB10_346:                             ;   in Loop: Header=BB10_285 Depth=1
	s_or_b64 exec, exec, s[16:17]
.LBB10_347:                             ;   in Loop: Header=BB10_285 Depth=1
	s_or_b64 exec, exec, s[14:15]
	global_load_dwordx2 v[33:34], v4, s[10:11] offset:40
	global_load_dwordx4 v[25:28], v4, s[10:11]
	v_readfirstlane_b32 s15, v10
	v_readfirstlane_b32 s14, v9
	s_mov_b64 s[16:17], exec
	s_waitcnt vmcnt(1)
	v_readfirstlane_b32 s18, v33
	v_readfirstlane_b32 s19, v34
	s_and_b64 s[18:19], s[18:19], s[14:15]
	s_mul_i32 s20, s19, 24
	s_mul_hi_u32 s21, s18, 24
	s_mul_i32 s24, s18, 24
	s_add_i32 s20, s21, s20
	v_mov_b32_e32 v9, s20
	s_waitcnt vmcnt(0)
	v_add_co_u32_e32 v33, vcc, s24, v25
	v_addc_co_u32_e32 v34, vcc, v26, v9, vcc
	s_and_saveexec_b64 s[20:21], s[4:5]
	s_cbranch_execz .LBB10_349
; %bb.348:                              ;   in Loop: Header=BB10_285 Depth=1
	v_mov_b32_e32 v9, s16
	v_mov_b32_e32 v10, s17
	global_store_dwordx4 v[33:34], v[9:12], off offset:8
.LBB10_349:                             ;   in Loop: Header=BB10_285 Depth=1
	s_or_b64 exec, exec, s[20:21]
	s_lshl_b64 s[16:17], s[18:19], 12
	v_mov_b32_e32 v9, s17
	v_add_co_u32_e32 v27, vcc, s16, v27
	v_addc_co_u32_e32 v28, vcc, v28, v9, vcc
	v_cmp_gt_u64_e32 vcc, 57, v[29:30]
	v_and_b32_e32 v0, 0xffffff1f, v0
	v_cndmask_b32_e32 v9, 0, v35, vcc
	v_lshl_add_u32 v10, v31, 2, 28
	v_or_b32_e32 v0, v0, v9
	v_and_or_b32 v0, v10, s23, v0
	v_readfirstlane_b32 s16, v27
	v_readfirstlane_b32 s17, v28
	s_nop 4
	global_store_dwordx4 v39, v[0:3], s[16:17]
	global_store_dwordx4 v39, v[13:16], s[16:17] offset:16
	global_store_dwordx4 v39, v[17:20], s[16:17] offset:32
	;; [unrolled: 1-line block ×3, first 2 shown]
	s_and_saveexec_b64 s[16:17], s[4:5]
	s_cbranch_execz .LBB10_357
; %bb.350:                              ;   in Loop: Header=BB10_285 Depth=1
	global_load_dwordx2 v[15:16], v4, s[10:11] offset:32 glc
	global_load_dwordx2 v[0:1], v4, s[10:11] offset:40
	v_mov_b32_e32 v13, s14
	v_mov_b32_e32 v14, s15
	s_waitcnt vmcnt(0)
	v_readfirstlane_b32 s18, v0
	v_readfirstlane_b32 s19, v1
	s_and_b64 s[18:19], s[18:19], s[14:15]
	s_mul_i32 s19, s19, 24
	s_mul_hi_u32 s20, s18, 24
	s_mul_i32 s18, s18, 24
	s_add_i32 s19, s20, s19
	v_mov_b32_e32 v0, s19
	v_add_co_u32_e32 v9, vcc, s18, v25
	v_addc_co_u32_e32 v10, vcc, v26, v0, vcc
	global_store_dwordx2 v[9:10], v[15:16], off
	s_waitcnt vmcnt(0)
	global_atomic_cmpswap_x2 v[2:3], v4, v[13:16], s[10:11] offset:32 glc
	s_waitcnt vmcnt(0)
	v_cmp_ne_u64_e32 vcc, v[2:3], v[15:16]
	s_and_saveexec_b64 s[18:19], vcc
	s_cbranch_execz .LBB10_353
; %bb.351:                              ;   in Loop: Header=BB10_285 Depth=1
	s_mov_b64 s[20:21], 0
.LBB10_352:                             ;   Parent Loop BB10_285 Depth=1
                                        ; =>  This Inner Loop Header: Depth=2
	s_sleep 1
	global_store_dwordx2 v[9:10], v[2:3], off
	v_mov_b32_e32 v0, s14
	v_mov_b32_e32 v1, s15
	s_waitcnt vmcnt(0)
	global_atomic_cmpswap_x2 v[0:1], v4, v[0:3], s[10:11] offset:32 glc
	s_waitcnt vmcnt(0)
	v_cmp_eq_u64_e32 vcc, v[0:1], v[2:3]
	v_mov_b32_e32 v3, v1
	s_or_b64 s[20:21], vcc, s[20:21]
	v_mov_b32_e32 v2, v0
	s_andn2_b64 exec, exec, s[20:21]
	s_cbranch_execnz .LBB10_352
.LBB10_353:                             ;   in Loop: Header=BB10_285 Depth=1
	s_or_b64 exec, exec, s[18:19]
	global_load_dwordx2 v[0:1], v4, s[10:11] offset:16
	s_mov_b64 s[20:21], exec
	v_mbcnt_lo_u32_b32 v2, s20, 0
	v_mbcnt_hi_u32_b32 v2, s21, v2
	v_cmp_eq_u32_e32 vcc, 0, v2
	s_and_saveexec_b64 s[18:19], vcc
	s_cbranch_execz .LBB10_355
; %bb.354:                              ;   in Loop: Header=BB10_285 Depth=1
	s_bcnt1_i32_b64 s20, s[20:21]
	v_mov_b32_e32 v3, s20
	s_waitcnt vmcnt(0)
	global_atomic_add_x2 v[0:1], v[3:4], off offset:8
.LBB10_355:                             ;   in Loop: Header=BB10_285 Depth=1
	s_or_b64 exec, exec, s[18:19]
	s_waitcnt vmcnt(0)
	global_load_dwordx2 v[9:10], v[0:1], off offset:16
	s_waitcnt vmcnt(0)
	v_cmp_eq_u64_e32 vcc, 0, v[9:10]
	s_cbranch_vccnz .LBB10_357
; %bb.356:                              ;   in Loop: Header=BB10_285 Depth=1
	global_load_dword v3, v[0:1], off offset:24
	s_waitcnt vmcnt(0)
	v_readfirstlane_b32 s18, v3
	s_and_b32 m0, s18, 0xffffff
	global_store_dwordx2 v[9:10], v[3:4], off
	s_sendmsg sendmsg(MSG_INTERRUPT)
.LBB10_357:                             ;   in Loop: Header=BB10_285 Depth=1
	s_or_b64 exec, exec, s[16:17]
	v_add_co_u32_e32 v0, vcc, v27, v39
	v_addc_co_u32_e32 v1, vcc, 0, v28, vcc
	s_branch .LBB10_361
.LBB10_358:                             ;   in Loop: Header=BB10_361 Depth=2
	s_or_b64 exec, exec, s[16:17]
	v_readfirstlane_b32 s16, v2
	s_cmp_eq_u32 s16, 0
	s_cbranch_scc1 .LBB10_360
; %bb.359:                              ;   in Loop: Header=BB10_361 Depth=2
	s_sleep 1
	s_cbranch_execnz .LBB10_361
	s_branch .LBB10_363
.LBB10_360:                             ;   in Loop: Header=BB10_285 Depth=1
	s_branch .LBB10_363
.LBB10_361:                             ;   Parent Loop BB10_285 Depth=1
                                        ; =>  This Inner Loop Header: Depth=2
	v_mov_b32_e32 v2, 1
	s_and_saveexec_b64 s[16:17], s[4:5]
	s_cbranch_execz .LBB10_358
; %bb.362:                              ;   in Loop: Header=BB10_361 Depth=2
	global_load_dword v2, v[33:34], off offset:20 glc
	s_waitcnt vmcnt(0)
	buffer_wbinvl1_vol
	v_and_b32_e32 v2, 1, v2
	s_branch .LBB10_358
.LBB10_363:                             ;   in Loop: Header=BB10_285 Depth=1
	global_load_dwordx2 v[0:1], v[0:1], off
	s_and_saveexec_b64 s[16:17], s[4:5]
	s_cbranch_execz .LBB10_284
; %bb.364:                              ;   in Loop: Header=BB10_285 Depth=1
	global_load_dwordx2 v[2:3], v4, s[10:11] offset:40
	global_load_dwordx2 v[17:18], v4, s[10:11] offset:24 glc
	global_load_dwordx2 v[9:10], v4, s[10:11]
	s_waitcnt vmcnt(2)
	v_readfirstlane_b32 s18, v2
	v_readfirstlane_b32 s19, v3
	s_add_u32 s20, s18, 1
	s_addc_u32 s21, s19, 0
	s_add_u32 s4, s20, s14
	s_addc_u32 s5, s21, s15
	s_cmp_eq_u64 s[4:5], 0
	s_cselect_b32 s5, s21, s5
	s_cselect_b32 s4, s20, s4
	s_and_b64 s[14:15], s[4:5], s[18:19]
	s_mul_i32 s15, s15, 24
	s_mul_hi_u32 s18, s14, 24
	s_mul_i32 s14, s14, 24
	s_add_i32 s15, s18, s15
	v_mov_b32_e32 v3, s15
	s_waitcnt vmcnt(0)
	v_add_co_u32_e32 v2, vcc, s14, v9
	v_addc_co_u32_e32 v3, vcc, v10, v3, vcc
	v_mov_b32_e32 v15, s4
	global_store_dwordx2 v[2:3], v[17:18], off
	v_mov_b32_e32 v16, s5
	s_waitcnt vmcnt(0)
	global_atomic_cmpswap_x2 v[15:16], v4, v[15:18], s[10:11] offset:24 glc
	s_waitcnt vmcnt(0)
	v_cmp_ne_u64_e32 vcc, v[15:16], v[17:18]
	s_and_b64 exec, exec, vcc
	s_cbranch_execz .LBB10_284
; %bb.365:                              ;   in Loop: Header=BB10_285 Depth=1
	s_mov_b64 s[14:15], 0
.LBB10_366:                             ;   Parent Loop BB10_285 Depth=1
                                        ; =>  This Inner Loop Header: Depth=2
	s_sleep 1
	global_store_dwordx2 v[2:3], v[15:16], off
	v_mov_b32_e32 v13, s4
	v_mov_b32_e32 v14, s5
	s_waitcnt vmcnt(0)
	global_atomic_cmpswap_x2 v[9:10], v4, v[13:16], s[10:11] offset:24 glc
	s_waitcnt vmcnt(0)
	v_cmp_eq_u64_e32 vcc, v[9:10], v[15:16]
	v_mov_b32_e32 v16, v10
	s_or_b64 s[14:15], vcc, s[14:15]
	v_mov_b32_e32 v15, v9
	s_andn2_b64 exec, exec, s[14:15]
	s_cbranch_execnz .LBB10_366
	s_branch .LBB10_284
.LBB10_367:
	s_or_b64 exec, exec, s[12:13]
                                        ; implicit-def: $vgpr39
                                        ; implicit-def: $vgpr38
.LBB10_368:
	s_andn2_saveexec_b64 s[6:7], s[6:7]
	s_cbranch_execz .LBB10_395
; %bb.369:
	v_readfirstlane_b32 s4, v38
	v_mov_b32_e32 v3, 0
	v_mov_b32_e32 v4, 0
	v_cmp_eq_u32_e64 s[4:5], s4, v38
	s_and_saveexec_b64 s[12:13], s[4:5]
	s_cbranch_execz .LBB10_375
; %bb.370:
	v_mov_b32_e32 v2, 0
	global_load_dwordx2 v[5:6], v2, s[10:11] offset:24 glc
	s_waitcnt vmcnt(0)
	buffer_wbinvl1_vol
	global_load_dwordx2 v[3:4], v2, s[10:11] offset:40
	global_load_dwordx2 v[9:10], v2, s[10:11]
	s_waitcnt vmcnt(1)
	v_and_b32_e32 v3, v3, v5
	v_and_b32_e32 v4, v4, v6
	v_mul_lo_u32 v4, v4, 24
	v_mul_hi_u32 v11, v3, 24
	v_mul_lo_u32 v3, v3, 24
	v_add_u32_e32 v4, v11, v4
	s_waitcnt vmcnt(0)
	v_add_co_u32_e32 v3, vcc, v9, v3
	v_addc_co_u32_e32 v4, vcc, v10, v4, vcc
	global_load_dwordx2 v[3:4], v[3:4], off glc
	s_waitcnt vmcnt(0)
	global_atomic_cmpswap_x2 v[3:4], v2, v[3:6], s[10:11] offset:24 glc
	s_waitcnt vmcnt(0)
	buffer_wbinvl1_vol
	v_cmp_ne_u64_e32 vcc, v[3:4], v[5:6]
	s_and_saveexec_b64 s[14:15], vcc
	s_cbranch_execz .LBB10_374
; %bb.371:
	s_mov_b64 s[16:17], 0
.LBB10_372:                             ; =>This Inner Loop Header: Depth=1
	s_sleep 1
	global_load_dwordx2 v[9:10], v2, s[10:11] offset:40
	global_load_dwordx2 v[11:12], v2, s[10:11]
	v_mov_b32_e32 v6, v4
	v_mov_b32_e32 v5, v3
	s_waitcnt vmcnt(1)
	v_and_b32_e32 v3, v9, v5
	s_waitcnt vmcnt(0)
	v_mad_u64_u32 v[3:4], s[18:19], v3, 24, v[11:12]
	v_and_b32_e32 v9, v10, v6
	v_mad_u64_u32 v[9:10], s[18:19], v9, 24, v[4:5]
	v_mov_b32_e32 v4, v9
	global_load_dwordx2 v[3:4], v[3:4], off glc
	s_waitcnt vmcnt(0)
	global_atomic_cmpswap_x2 v[3:4], v2, v[3:6], s[10:11] offset:24 glc
	s_waitcnt vmcnt(0)
	buffer_wbinvl1_vol
	v_cmp_eq_u64_e32 vcc, v[3:4], v[5:6]
	s_or_b64 s[16:17], vcc, s[16:17]
	s_andn2_b64 exec, exec, s[16:17]
	s_cbranch_execnz .LBB10_372
; %bb.373:
	s_or_b64 exec, exec, s[16:17]
.LBB10_374:
	s_or_b64 exec, exec, s[14:15]
.LBB10_375:
	s_or_b64 exec, exec, s[12:13]
	v_mov_b32_e32 v2, 0
	global_load_dwordx2 v[5:6], v2, s[10:11] offset:40
	global_load_dwordx4 v[9:12], v2, s[10:11]
	v_readfirstlane_b32 s13, v4
	v_readfirstlane_b32 s12, v3
	s_mov_b64 s[14:15], exec
	s_waitcnt vmcnt(1)
	v_readfirstlane_b32 s16, v5
	v_readfirstlane_b32 s17, v6
	s_and_b64 s[16:17], s[16:17], s[12:13]
	s_mul_i32 s18, s17, 24
	s_mul_hi_u32 s19, s16, 24
	s_mul_i32 s20, s16, 24
	s_add_i32 s18, s19, s18
	v_mov_b32_e32 v3, s18
	s_waitcnt vmcnt(0)
	v_add_co_u32_e32 v4, vcc, s20, v9
	v_addc_co_u32_e32 v5, vcc, v10, v3, vcc
	s_and_saveexec_b64 s[18:19], s[4:5]
	s_cbranch_execz .LBB10_377
; %bb.376:
	v_mov_b32_e32 v13, s14
	v_mov_b32_e32 v14, s15
	;; [unrolled: 1-line block ×4, first 2 shown]
	global_store_dwordx4 v[4:5], v[13:16], off offset:8
.LBB10_377:
	s_or_b64 exec, exec, s[18:19]
	s_lshl_b64 s[14:15], s[16:17], 12
	v_mov_b32_e32 v3, s15
	v_add_co_u32_e32 v6, vcc, s14, v11
	v_addc_co_u32_e32 v13, vcc, v12, v3, vcc
	s_movk_i32 s14, 0xff1f
	v_and_or_b32 v0, v0, s14, 32
	s_mov_b32 s16, 0
	v_mov_b32_e32 v3, v2
	v_readfirstlane_b32 s14, v6
	v_readfirstlane_b32 s15, v13
	v_add_co_u32_e32 v11, vcc, v6, v39
	s_mov_b32 s17, s16
	s_mov_b32 s18, s16
	;; [unrolled: 1-line block ×3, first 2 shown]
	s_nop 0
	global_store_dwordx4 v39, v[0:3], s[14:15]
	v_addc_co_u32_e32 v12, vcc, 0, v13, vcc
	v_mov_b32_e32 v0, s16
	v_mov_b32_e32 v1, s17
	;; [unrolled: 1-line block ×4, first 2 shown]
	global_store_dwordx4 v39, v[0:3], s[14:15] offset:16
	global_store_dwordx4 v39, v[0:3], s[14:15] offset:32
	;; [unrolled: 1-line block ×3, first 2 shown]
	s_and_saveexec_b64 s[14:15], s[4:5]
	s_cbranch_execz .LBB10_385
; %bb.378:
	v_mov_b32_e32 v6, 0
	global_load_dwordx2 v[15:16], v6, s[10:11] offset:32 glc
	global_load_dwordx2 v[0:1], v6, s[10:11] offset:40
	v_mov_b32_e32 v13, s12
	v_mov_b32_e32 v14, s13
	s_waitcnt vmcnt(0)
	v_readfirstlane_b32 s16, v0
	v_readfirstlane_b32 s17, v1
	s_and_b64 s[16:17], s[16:17], s[12:13]
	s_mul_i32 s17, s17, 24
	s_mul_hi_u32 s18, s16, 24
	s_mul_i32 s16, s16, 24
	s_add_i32 s17, s18, s17
	v_mov_b32_e32 v0, s17
	v_add_co_u32_e32 v9, vcc, s16, v9
	v_addc_co_u32_e32 v10, vcc, v10, v0, vcc
	global_store_dwordx2 v[9:10], v[15:16], off
	s_waitcnt vmcnt(0)
	global_atomic_cmpswap_x2 v[2:3], v6, v[13:16], s[10:11] offset:32 glc
	s_waitcnt vmcnt(0)
	v_cmp_ne_u64_e32 vcc, v[2:3], v[15:16]
	s_and_saveexec_b64 s[16:17], vcc
	s_cbranch_execz .LBB10_381
; %bb.379:
	s_mov_b64 s[18:19], 0
.LBB10_380:                             ; =>This Inner Loop Header: Depth=1
	s_sleep 1
	global_store_dwordx2 v[9:10], v[2:3], off
	v_mov_b32_e32 v0, s12
	v_mov_b32_e32 v1, s13
	s_waitcnt vmcnt(0)
	global_atomic_cmpswap_x2 v[0:1], v6, v[0:3], s[10:11] offset:32 glc
	s_waitcnt vmcnt(0)
	v_cmp_eq_u64_e32 vcc, v[0:1], v[2:3]
	v_mov_b32_e32 v3, v1
	s_or_b64 s[18:19], vcc, s[18:19]
	v_mov_b32_e32 v2, v0
	s_andn2_b64 exec, exec, s[18:19]
	s_cbranch_execnz .LBB10_380
.LBB10_381:
	s_or_b64 exec, exec, s[16:17]
	v_mov_b32_e32 v3, 0
	global_load_dwordx2 v[0:1], v3, s[10:11] offset:16
	s_mov_b64 s[16:17], exec
	v_mbcnt_lo_u32_b32 v2, s16, 0
	v_mbcnt_hi_u32_b32 v2, s17, v2
	v_cmp_eq_u32_e32 vcc, 0, v2
	s_and_saveexec_b64 s[18:19], vcc
	s_cbranch_execz .LBB10_383
; %bb.382:
	s_bcnt1_i32_b64 s16, s[16:17]
	v_mov_b32_e32 v2, s16
	s_waitcnt vmcnt(0)
	global_atomic_add_x2 v[0:1], v[2:3], off offset:8
.LBB10_383:
	s_or_b64 exec, exec, s[18:19]
	s_waitcnt vmcnt(0)
	global_load_dwordx2 v[2:3], v[0:1], off offset:16
	s_waitcnt vmcnt(0)
	v_cmp_eq_u64_e32 vcc, 0, v[2:3]
	s_cbranch_vccnz .LBB10_385
; %bb.384:
	global_load_dword v0, v[0:1], off offset:24
	v_mov_b32_e32 v1, 0
	s_waitcnt vmcnt(0)
	v_readfirstlane_b32 s16, v0
	s_and_b32 m0, s16, 0xffffff
	global_store_dwordx2 v[2:3], v[0:1], off
	s_sendmsg sendmsg(MSG_INTERRUPT)
.LBB10_385:
	s_or_b64 exec, exec, s[14:15]
	s_branch .LBB10_389
.LBB10_386:                             ;   in Loop: Header=BB10_389 Depth=1
	s_or_b64 exec, exec, s[14:15]
	v_readfirstlane_b32 s14, v0
	s_cmp_eq_u32 s14, 0
	s_cbranch_scc1 .LBB10_388
; %bb.387:                              ;   in Loop: Header=BB10_389 Depth=1
	s_sleep 1
	s_cbranch_execnz .LBB10_389
	s_branch .LBB10_391
.LBB10_388:
	s_branch .LBB10_391
.LBB10_389:                             ; =>This Inner Loop Header: Depth=1
	v_mov_b32_e32 v0, 1
	s_and_saveexec_b64 s[14:15], s[4:5]
	s_cbranch_execz .LBB10_386
; %bb.390:                              ;   in Loop: Header=BB10_389 Depth=1
	global_load_dword v0, v[4:5], off offset:20 glc
	s_waitcnt vmcnt(0)
	buffer_wbinvl1_vol
	v_and_b32_e32 v0, 1, v0
	s_branch .LBB10_386
.LBB10_391:
	global_load_dwordx2 v[0:1], v[11:12], off
	s_and_saveexec_b64 s[14:15], s[4:5]
	s_cbranch_execz .LBB10_394
; %bb.392:
	v_mov_b32_e32 v6, 0
	global_load_dwordx2 v[2:3], v6, s[10:11] offset:40
	global_load_dwordx2 v[13:14], v6, s[10:11] offset:24 glc
	global_load_dwordx2 v[4:5], v6, s[10:11]
	s_waitcnt vmcnt(2)
	v_readfirstlane_b32 s16, v2
	v_readfirstlane_b32 s17, v3
	s_add_u32 s18, s16, 1
	s_addc_u32 s19, s17, 0
	s_add_u32 s4, s18, s12
	s_addc_u32 s5, s19, s13
	s_cmp_eq_u64 s[4:5], 0
	s_cselect_b32 s5, s19, s5
	s_cselect_b32 s4, s18, s4
	s_and_b64 s[12:13], s[4:5], s[16:17]
	s_mul_i32 s13, s13, 24
	s_mul_hi_u32 s16, s12, 24
	s_mul_i32 s12, s12, 24
	s_add_i32 s13, s16, s13
	v_mov_b32_e32 v2, s13
	s_waitcnt vmcnt(0)
	v_add_co_u32_e32 v9, vcc, s12, v4
	v_addc_co_u32_e32 v10, vcc, v5, v2, vcc
	v_mov_b32_e32 v11, s4
	global_store_dwordx2 v[9:10], v[13:14], off
	v_mov_b32_e32 v12, s5
	s_waitcnt vmcnt(0)
	global_atomic_cmpswap_x2 v[4:5], v6, v[11:14], s[10:11] offset:24 glc
	s_mov_b64 s[12:13], 0
	s_waitcnt vmcnt(0)
	v_cmp_ne_u64_e32 vcc, v[4:5], v[13:14]
	s_and_b64 exec, exec, vcc
	s_cbranch_execz .LBB10_394
.LBB10_393:                             ; =>This Inner Loop Header: Depth=1
	s_sleep 1
	global_store_dwordx2 v[9:10], v[4:5], off
	v_mov_b32_e32 v2, s4
	v_mov_b32_e32 v3, s5
	s_waitcnt vmcnt(0)
	global_atomic_cmpswap_x2 v[2:3], v6, v[2:5], s[10:11] offset:24 glc
	s_waitcnt vmcnt(0)
	v_cmp_eq_u64_e32 vcc, v[2:3], v[4:5]
	v_mov_b32_e32 v5, v3
	s_or_b64 s[12:13], vcc, s[12:13]
	v_mov_b32_e32 v4, v2
	s_andn2_b64 exec, exec, s[12:13]
	s_cbranch_execnz .LBB10_393
.LBB10_394:
	s_or_b64 exec, exec, s[14:15]
.LBB10_395:
	s_or_b64 exec, exec, s[6:7]
	v_mov_b32_e32 v2, v7
	s_mov_b64 s[4:5], 0
	v_mov_b32_e32 v3, v8
.LBB10_396:                             ; =>This Inner Loop Header: Depth=1
	global_load_ubyte v6, v[2:3], off
	v_add_co_u32_e32 v4, vcc, 1, v2
	v_addc_co_u32_e32 v5, vcc, 0, v3, vcc
	v_mov_b32_e32 v2, v4
	v_mov_b32_e32 v3, v5
	s_waitcnt vmcnt(0)
	v_cmp_eq_u16_e32 vcc, 0, v6
	s_or_b64 s[4:5], vcc, s[4:5]
	s_andn2_b64 exec, exec, s[4:5]
	s_cbranch_execnz .LBB10_396
; %bb.397:
	s_or_b64 exec, exec, s[4:5]
	v_sub_u32_e32 v4, v4, v7
	v_ashrrev_i32_e32 v5, 31, v4
	s_getpc_b64 s[4:5]
	s_add_u32 s4, s4, __ockl_fprintf_append_string_n@rel32@lo+4
	s_addc_u32 s5, s5, __ockl_fprintf_append_string_n@rel32@hi+12
	v_mov_b32_e32 v2, v7
	v_mov_b32_e32 v3, v8
	;; [unrolled: 1-line block ×3, first 2 shown]
	s_swappc_b64 s[30:31], s[4:5]
	s_trap 2
.Lfunc_end10:
	.size	__assert_fail, .Lfunc_end10-__assert_fail
                                        ; -- End function
	.set .L__assert_fail.num_vgpr, max(53, .L__ockl_fprintf_append_string_n.num_vgpr)
	.set .L__assert_fail.num_agpr, max(0, .L__ockl_fprintf_append_string_n.num_agpr)
	.set .L__assert_fail.numbered_sgpr, max(34, .L__ockl_fprintf_append_string_n.numbered_sgpr)
	.set .L__assert_fail.num_named_barrier, max(0, .L__ockl_fprintf_append_string_n.num_named_barrier)
	.set .L__assert_fail.private_seg_size, 64+max(.L__ockl_fprintf_append_string_n.private_seg_size)
	.set .L__assert_fail.uses_vcc, or(1, .L__ockl_fprintf_append_string_n.uses_vcc)
	.set .L__assert_fail.uses_flat_scratch, or(0, .L__ockl_fprintf_append_string_n.uses_flat_scratch)
	.set .L__assert_fail.has_dyn_sized_stack, or(0, .L__ockl_fprintf_append_string_n.has_dyn_sized_stack)
	.set .L__assert_fail.has_recursion, or(0, .L__ockl_fprintf_append_string_n.has_recursion)
	.set .L__assert_fail.has_indirect_call, or(0, .L__ockl_fprintf_append_string_n.has_indirect_call)
	.section	.AMDGPU.csdata,"",@progbits
; Function info:
; codeLenInByte = 14188
; TotalNumSgprs: 38
; NumVgprs: 53
; ScratchSize: 64
; MemoryBound: 0
	.section	.text._ZN9rocsolver6v33100L15syevx_sort_eigsIffPfEEviPiPT0_lT1_iilS3_lS3_S3_,"axG",@progbits,_ZN9rocsolver6v33100L15syevx_sort_eigsIffPfEEviPiPT0_lT1_iilS3_lS3_S3_,comdat
	.globl	_ZN9rocsolver6v33100L15syevx_sort_eigsIffPfEEviPiPT0_lT1_iilS3_lS3_S3_ ; -- Begin function _ZN9rocsolver6v33100L15syevx_sort_eigsIffPfEEviPiPT0_lT1_iilS3_lS3_S3_
	.p2align	8
	.type	_ZN9rocsolver6v33100L15syevx_sort_eigsIffPfEEviPiPT0_lT1_iilS3_lS3_S3_,@function
_ZN9rocsolver6v33100L15syevx_sort_eigsIffPfEEviPiPT0_lT1_iilS3_lS3_S3_: ; @_ZN9rocsolver6v33100L15syevx_sort_eigsIffPfEEviPiPT0_lT1_iilS3_lS3_S3_
; %bb.0:
	s_add_u32 flat_scratch_lo, s6, s10
	s_addc_u32 flat_scratch_hi, s7, 0
	s_mov_b64 s[26:27], s[4:5]
	s_load_dwordx8 s[36:43], s[4:5], 0x8
	s_load_dwordx8 s[44:51], s[4:5], 0x30
	s_nop 0
	s_load_dwordx2 s[4:5], s[4:5], 0x50
	s_add_u32 s0, s0, s10
	s_mov_b32 s52, s9
	s_mov_b32 s53, 0
	s_addc_u32 s1, s1, 0
	s_lshl_b64 s[6:7], s[52:53], 2
	s_waitcnt lgkmcnt(0)
	s_add_u32 s8, s36, s6
	s_addc_u32 s9, s37, s7
	s_load_dword s53, s[8:9], 0x0
	s_add_u32 s6, s50, s6
	s_addc_u32 s7, s51, s7
	s_mov_b64 s[34:35], 0
	s_cmp_eq_u64 s[46:47], 0
	s_mov_b64 s[28:29], 0
	s_mov_b32 s32, 0
	s_cbranch_scc1 .LBB11_2
; %bb.1:
	s_mul_i32 s8, s49, s52
	s_mul_hi_u32 s9, s48, s52
	s_add_i32 s9, s9, s8
	s_mul_i32 s8, s48, s52
	s_lshl_b64 s[8:9], s[8:9], 2
	s_add_u32 s28, s46, s8
	s_addc_u32 s29, s47, s9
.LBB11_2:
	s_load_dword s49, s[26:27], 0x0
	s_mov_b64 s[8:9], -1
	s_waitcnt lgkmcnt(0)
	s_cmp_le_i32 s53, s49
	s_cbranch_scc1 .LBB11_6
; %bb.3:
	s_and_b64 vcc, exec, s[8:9]
	s_cbranch_vccnz .LBB11_80
.LBB11_4:
	s_and_saveexec_b64 s[4:5], s[34:35]
	s_cbranch_execnz .LBB11_81
.LBB11_5:
	s_endpgm
.LBB11_6:
	s_cmp_lg_u64 s[4:5], 0
	s_mov_b64 s[46:47], 0
	s_cbranch_scc0 .LBB11_28
; %bb.7:
	s_load_dwordx2 s[8:9], s[26:27], 0x64
	s_load_dword s51, s[6:7], 0x0
	s_mul_i32 s6, s49, s52
	s_mov_b32 s7, 0
	s_lshl_b64 s[6:7], s[6:7], 2
	s_waitcnt lgkmcnt(0)
	s_and_b32 s9, s9, 0xffff
	s_lshr_b32 s10, s8, 16
	s_and_b32 s11, s8, 0xffff
	s_and_b32 s12, s9, 0xffff
	s_add_u32 s48, s4, s6
	s_addc_u32 s50, s5, s7
	s_cmp_gt_i32 s53, 0
	s_mul_i32 s54, s10, s11
	s_cselect_b64 s[6:7], -1, 0
	s_cmp_lg_u64 s[38:39], 0
	v_mul_lo_u32 v43, s54, v2
	s_cselect_b64 s[8:9], -1, 0
	s_and_b64 s[6:7], s[8:9], s[6:7]
	s_and_b64 vcc, exec, s[6:7]
	v_mul_u32_u24_e32 v42, s11, v1
	s_mul_i32 s54, s54, s12
	s_barrier
	s_cbranch_vccz .LBB11_29
; %bb.8:
	v_add3_u32 v41, v42, v0, v43
	s_cmp_lg_u64 s[4:5], 0
	s_cselect_b64 s[4:5], -1, 0
	v_cmp_gt_u32_e32 vcc, s53, v41
	s_mov_b64 s[6:7], 0
	s_and_b64 s[10:11], s[4:5], vcc
	s_barrier
	s_and_saveexec_b64 s[8:9], s[10:11]
	s_cbranch_execz .LBB11_11
; %bb.9:
	v_mov_b32_e32 v4, 0
	v_mov_b32_e32 v5, s50
	;; [unrolled: 1-line block ×3, first 2 shown]
.LBB11_10:                              ; =>This Inner Loop Header: Depth=1
	v_lshlrev_b64 v[6:7], 2, v[3:4]
	v_add_co_u32_e32 v6, vcc, s48, v6
	v_addc_co_u32_e32 v7, vcc, v5, v7, vcc
	global_store_dword v[6:7], v3, off
	v_add_u32_e32 v3, s54, v3
	v_cmp_le_u32_e32 vcc, s53, v3
	s_or_b64 s[6:7], vcc, s[6:7]
	s_andn2_b64 exec, exec, s[6:7]
	s_cbranch_execnz .LBB11_10
.LBB11_11:
	s_or_b64 exec, exec, s[8:9]
	s_mul_i32 s6, s41, s52
	s_mul_hi_u32 s8, s40, s52
	s_add_i32 s9, s8, s6
	s_mul_i32 s8, s40, s52
	s_lshl_b64 s[8:9], s[8:9], 2
	v_or3_b32 v1, v1, v2, v0
	s_add_u32 s20, s38, s8
	s_mov_b32 s7, 0
	v_cmp_eq_u32_e32 vcc, 0, v1
	s_addc_u32 s21, s39, s9
	s_waitcnt vmcnt(0)
	s_barrier
	s_and_saveexec_b64 s[8:9], vcc
	s_cbranch_execz .LBB11_30
; %bb.12:
	v_cndmask_b32_e64 v2, 0, 1, s[4:5]
	v_mov_b32_e32 v1, 0
	v_cmp_ne_u32_e64 s[4:5], 1, v2
	s_mov_b32 s10, s7
	s_branch .LBB11_14
.LBB11_13:                              ;   in Loop: Header=BB11_14 Depth=1
	s_add_i32 s10, s10, 1
	s_cmp_eq_u32 s10, 8
	s_cbranch_scc1 .LBB11_30
.LBB11_14:                              ; =>This Loop Header: Depth=1
                                        ;     Child Loop BB11_17 Depth 2
                                        ;       Child Loop BB11_21 Depth 3
	s_mov_b32 s11, s7
	s_lshl_b64 s[12:13], s[10:11], 2
	s_getpc_b64 s[14:15]
	s_add_u32 s14, s14, __const._ZN9rocsolver6v33100L20shell_sort_ascendingIfiEEvT0_PT_PS2_.gaps@rel32@lo+4
	s_addc_u32 s15, s15, __const._ZN9rocsolver6v33100L20shell_sort_ascendingIfiEEvT0_PT_PS2_.gaps@rel32@hi+12
	s_add_u32 s12, s14, s12
	s_addc_u32 s13, s15, s13
	s_load_dword s11, s[12:13], 0x0
	s_waitcnt lgkmcnt(0)
	s_cmp_ge_i32 s11, s53
	s_cbranch_scc1 .LBB11_13
; %bb.15:                               ;   in Loop: Header=BB11_14 Depth=1
	s_mov_b32 s22, 0
	s_mov_b32 s12, s11
	s_branch .LBB11_17
.LBB11_16:                              ;   in Loop: Header=BB11_17 Depth=2
	s_add_i32 s12, s12, 1
	s_add_i32 s22, s22, 1
	s_cmp_ge_i32 s12, s53
	s_cbranch_scc1 .LBB11_13
.LBB11_17:                              ;   Parent Loop BB11_14 Depth=1
                                        ; =>  This Loop Header: Depth=2
                                        ;       Child Loop BB11_21 Depth 3
	s_ashr_i32 s13, s12, 31
	s_lshl_b64 s[14:15], s[12:13], 2
	s_add_u32 s16, s20, s14
	s_addc_u32 s17, s21, s15
	global_load_dword v2, v1, s[16:17]
	s_and_b64 vcc, exec, s[4:5]
	s_cbranch_vccnz .LBB11_19
; %bb.18:                               ;   in Loop: Header=BB11_17 Depth=2
	s_add_u32 s14, s48, s14
	s_addc_u32 s15, s50, s15
	global_load_dword v3, v1, s[14:15]
	s_cmp_lt_i32 s12, s11
	s_mov_b64 s[14:15], s[12:13]
	s_mov_b32 s6, s22
	s_cbranch_scc0 .LBB11_21
	s_branch .LBB11_26
.LBB11_19:                              ;   in Loop: Header=BB11_17 Depth=2
	v_mov_b32_e32 v3, 0
	s_cmp_lt_i32 s12, s11
	s_mov_b64 s[14:15], s[12:13]
	s_mov_b32 s6, s22
	s_cbranch_scc0 .LBB11_21
	s_branch .LBB11_26
.LBB11_20:                              ;   in Loop: Header=BB11_21 Depth=3
                                        ; implicit-def: $sgpr13
	s_and_b64 vcc, exec, s[18:19]
	s_mov_b32 s6, s13
	s_cbranch_vccnz .LBB11_25
.LBB11_21:                              ;   Parent Loop BB11_14 Depth=1
                                        ;     Parent Loop BB11_17 Depth=2
                                        ; =>    This Inner Loop Header: Depth=3
	s_add_i32 s14, s11, s6
	s_lshl_b64 s[16:17], s[6:7], 2
	s_add_u32 s18, s20, s16
	s_addc_u32 s19, s21, s17
	global_load_dword v4, v1, s[18:19]
	s_mov_b64 s[18:19], -1
	s_waitcnt vmcnt(0)
	v_cmp_ngt_f32_e32 vcc, v4, v2
	s_cbranch_vccnz .LBB11_20
; %bb.22:                               ;   in Loop: Header=BB11_21 Depth=3
	s_ashr_i32 s15, s14, 31
	s_lshl_b64 s[14:15], s[14:15], 2
	s_add_u32 s18, s20, s14
	s_addc_u32 s19, s21, s15
	s_and_b64 vcc, exec, s[4:5]
	global_store_dword v1, v4, s[18:19]
	s_cbranch_vccnz .LBB11_24
; %bb.23:                               ;   in Loop: Header=BB11_21 Depth=3
	s_add_u32 s14, s48, s14
	s_addc_u32 s15, s50, s15
	s_add_u32 s16, s48, s16
	s_addc_u32 s17, s50, s17
	global_load_dword v4, v1, s[16:17]
	s_waitcnt vmcnt(0)
	global_store_dword v1, v4, s[14:15]
.LBB11_24:                              ;   in Loop: Header=BB11_21 Depth=3
	s_sub_i32 s13, s6, s11
	s_cmp_lt_i32 s6, s11
	s_cselect_b64 s[18:19], -1, 0
	s_mov_b32 s14, s6
	s_and_b64 vcc, exec, s[18:19]
	s_mov_b32 s6, s13
	s_cbranch_vccz .LBB11_21
.LBB11_25:                              ;   in Loop: Header=BB11_17 Depth=2
	s_ashr_i32 s15, s14, 31
.LBB11_26:                              ;   in Loop: Header=BB11_17 Depth=2
	s_lshl_b64 s[14:15], s[14:15], 2
	s_add_u32 s16, s20, s14
	s_addc_u32 s17, s21, s15
	s_and_b64 vcc, exec, s[4:5]
	s_waitcnt vmcnt(0)
	global_store_dword v1, v2, s[16:17]
	s_cbranch_vccnz .LBB11_16
; %bb.27:                               ;   in Loop: Header=BB11_17 Depth=2
	s_add_u32 s14, s48, s14
	s_addc_u32 s15, s50, s15
	global_store_dword v1, v3, s[14:15]
	s_branch .LBB11_16
.LBB11_28:
	s_cbranch_execnz .LBB11_78
	s_branch .LBB11_79
.LBB11_29:
                                        ; implicit-def: $vgpr41
                                        ; implicit-def: $vgpr3
	s_cbranch_execnz .LBB11_45
	s_branch .LBB11_46
.LBB11_30:
	s_or_b64 exec, exec, s[8:9]
	s_cmp_lt_u32 s53, 2
	s_cselect_b64 s[8:9], -1, 0
	s_mov_b64 s[46:47], 0
	s_and_b64 vcc, exec, s[8:9]
	s_waitcnt vmcnt(0)
	s_barrier
	s_cbranch_vccnz .LBB11_38
; %bb.31:
	s_add_i32 s18, s53, -1
	v_cmp_gt_u32_e32 vcc, s18, v41
	s_mov_b64 s[8:9], -1
	s_mov_b64 s[4:5], 0
	s_and_saveexec_b64 s[6:7], vcc
	s_cbranch_execz .LBB11_40
; %bb.32:
	s_mov_b64 s[8:9], 0
	v_mov_b32_e32 v2, 0
	v_mov_b32_e32 v5, s21
	;; [unrolled: 1-line block ×3, first 2 shown]
                                        ; implicit-def: $sgpr10_sgpr11
	s_branch .LBB11_34
.LBB11_33:                              ;   in Loop: Header=BB11_34 Depth=1
	s_or_b64 exec, exec, s[16:17]
	s_xor_b64 s[12:13], s[14:15], -1
	s_and_b64 s[4:5], exec, s[4:5]
	s_or_b64 s[8:9], s[4:5], s[8:9]
	s_andn2_b64 s[4:5], s[10:11], exec
	s_and_b64 s[10:11], s[12:13], exec
	s_or_b64 s[10:11], s[4:5], s[10:11]
	s_andn2_b64 exec, exec, s[8:9]
	s_cbranch_execz .LBB11_39
.LBB11_34:                              ; =>This Inner Loop Header: Depth=1
	v_lshlrev_b64 v[3:4], 2, v[1:2]
	v_add_co_u32_e32 v3, vcc, s20, v3
	v_addc_co_u32_e32 v4, vcc, v5, v4, vcc
	global_load_dword v6, v[3:4], off
	s_waitcnt vmcnt(0)
	v_cmp_u_f32_e64 s[12:13], v6, v6
	v_cmp_o_f32_e32 vcc, v6, v6
	s_and_saveexec_b64 s[14:15], vcc
	s_cbranch_execz .LBB11_36
; %bb.35:                               ;   in Loop: Header=BB11_34 Depth=1
	global_load_dword v3, v[3:4], off offset:4
	s_andn2_b64 s[12:13], s[12:13], exec
	s_waitcnt vmcnt(0)
	v_cmp_u_f32_e32 vcc, v3, v3
	v_cmp_le_f32_e64 s[4:5], v6, v3
	s_or_b64 s[4:5], vcc, s[4:5]
	s_and_b64 s[4:5], s[4:5], exec
	s_or_b64 s[12:13], s[12:13], s[4:5]
.LBB11_36:                              ;   in Loop: Header=BB11_34 Depth=1
	s_or_b64 exec, exec, s[14:15]
	s_mov_b64 s[4:5], -1
	s_mov_b64 s[14:15], -1
	s_and_saveexec_b64 s[16:17], s[12:13]
	s_cbranch_execz .LBB11_33
; %bb.37:                               ;   in Loop: Header=BB11_34 Depth=1
	v_add_u32_e32 v1, s54, v1
	v_cmp_le_u32_e32 vcc, s18, v1
	s_xor_b64 s[14:15], exec, -1
	s_orn2_b64 s[4:5], vcc, exec
	s_branch .LBB11_33
.LBB11_38:
	s_mov_b64 s[4:5], 0
	s_and_saveexec_b64 s[6:7], s[8:9]
	s_cbranch_execnz .LBB11_41
	s_branch .LBB11_42
.LBB11_39:
	s_or_b64 exec, exec, s[8:9]
	s_mov_b64 s[4:5], exec
	s_orn2_b64 s[8:9], s[10:11], exec
.LBB11_40:
	s_or_b64 exec, exec, s[6:7]
	s_and_saveexec_b64 s[6:7], s[8:9]
	s_cbranch_execz .LBB11_42
.LBB11_41:
	s_mov_b64 s[46:47], exec
	s_barrier
	s_andn2_b64 s[4:5], s[4:5], exec
.LBB11_42:
	s_or_b64 exec, exec, s[6:7]
	s_mov_b64 s[36:37], 0
	s_mov_b64 s[34:35], 0
	s_and_saveexec_b64 s[6:7], s[4:5]
	s_xor_b64 s[38:39], exec, s[6:7]
	s_cbranch_execz .LBB11_44
; %bb.43:
	s_add_u32 s8, s26, 0x58
	s_addc_u32 s9, s27, 0
	s_getpc_b64 s[4:5]
	s_add_u32 s4, s4, .str.7@rel32@lo+4
	s_addc_u32 s5, s5, .str.7@rel32@hi+12
	s_getpc_b64 s[6:7]
	s_add_u32 s6, s6, .str.8@rel32@lo+4
	s_addc_u32 s7, s7, .str.8@rel32@hi+12
	s_getpc_b64 s[10:11]
	s_add_u32 s10, s10, __PRETTY_FUNCTION__._ZN9rocsolver6v33100L20shell_sort_ascendingIfiEEvT0_PT_PS2_@rel32@lo+4
	s_addc_u32 s11, s11, __PRETTY_FUNCTION__._ZN9rocsolver6v33100L20shell_sort_ascendingIfiEEvT0_PT_PS2_@rel32@hi+12
	s_getpc_b64 s[12:13]
	s_add_u32 s12, s12, __assert_fail@rel32@lo+4
	s_addc_u32 s13, s13, __assert_fail@rel32@hi+12
	v_mov_b32_e32 v44, v0
	v_mov_b32_e32 v0, s4
	;; [unrolled: 1-line block ×8, first 2 shown]
	s_swappc_b64 s[30:31], s[12:13]
	v_mov_b32_e32 v0, v44
	s_mov_b64 s[34:35], exec
.LBB11_44:
	s_or_b64 exec, exec, s[38:39]
	v_mov_b32_e32 v3, s54
	s_and_b64 vcc, exec, s[36:37]
	s_cbranch_vccz .LBB11_46
.LBB11_45:
	v_add3_u32 v41, v42, v0, v43
	v_mov_b32_e32 v3, s54
	s_or_b64 s[46:47], s[46:47], exec
.LBB11_46:
	s_and_saveexec_b64 s[36:37], s[46:47]
	s_cbranch_execz .LBB11_77
; %bb.47:
	s_cmp_lt_i32 s53, 1
	s_barrier
	s_cbranch_scc1 .LBB11_66
; %bb.48:
	s_load_dwordx2 s[8:9], s[26:27], 0x28
	s_mul_i32 s10, s45, s52
	s_mul_i32 s12, s44, s52
	s_mov_b32 s11, 0
	v_cmp_eq_u32_e64 s[4:5], 0, v41
	s_waitcnt lgkmcnt(0)
	s_ashr_i32 s7, s8, 31
	s_mov_b32 s6, s8
	s_mul_hi_u32 s8, s44, s52
	s_add_i32 s13, s8, s10
	s_lshl_b64 s[12:13], s[12:13], 2
	s_add_u32 s8, s42, s12
	s_addc_u32 s10, s43, s13
	s_lshl_b64 s[6:7], s[6:7], 2
	s_add_u32 s24, s8, s6
	s_addc_u32 s25, s10, s7
	s_cmp_lg_u64 s[28:29], 0
	v_cmp_gt_i32_e64 s[6:7], s49, v41
	s_mov_b32 s30, s9
	s_cselect_b64 s[12:13], -1, 0
	v_cmp_gt_i32_e64 s[8:9], s51, v41
	v_mov_b32_e32 v4, 0
	s_mov_b32 s10, s11
	s_branch .LBB11_50
.LBB11_49:                              ;   in Loop: Header=BB11_50 Depth=1
	s_add_i32 s10, s10, 1
	s_cmp_eq_u32 s10, s53
	s_cbranch_scc1 .LBB11_66
.LBB11_50:                              ; =>This Loop Header: Depth=1
                                        ;     Child Loop BB11_53 Depth 2
                                        ;       Child Loop BB11_57 Depth 3
                                        ;       Child Loop BB11_62 Depth 3
	s_lshl_b64 s[14:15], s[10:11], 2
	s_add_u32 s14, s48, s14
	s_addc_u32 s15, s50, s15
	s_barrier
	global_load_dword v0, v4, s[14:15]
	s_waitcnt vmcnt(0)
	v_cmp_eq_u32_e32 vcc, s10, v0
	v_readfirstlane_b32 s16, v0
	s_cbranch_vccz .LBB11_53
	s_branch .LBB11_49
.LBB11_51:                              ;   in Loop: Header=BB11_53 Depth=2
	s_or_b64 exec, exec, s[18:19]
	s_waitcnt vmcnt(0)
	s_barrier
.LBB11_52:                              ;   in Loop: Header=BB11_53 Depth=2
	global_load_dword v0, v4, s[14:15]
	s_waitcnt vmcnt(0)
	v_cmp_ne_u32_e32 vcc, s10, v0
	v_readfirstlane_b32 s16, v0
	s_cbranch_vccz .LBB11_49
.LBB11_53:                              ;   Parent Loop BB11_50 Depth=1
                                        ; =>  This Loop Header: Depth=2
                                        ;       Child Loop BB11_57 Depth 3
                                        ;       Child Loop BB11_62 Depth 3
	s_ashr_i32 s17, s16, 31
	s_lshl_b64 s[18:19], s[16:17], 2
	s_add_u32 s18, s48, s18
	s_addc_u32 s19, s50, s19
	global_load_dword v0, v4, s[18:19]
	s_waitcnt vmcnt(0)
	s_barrier
	v_readfirstlane_b32 s17, v0
	s_and_saveexec_b64 s[20:21], s[4:5]
	s_cbranch_execz .LBB11_55
; %bb.54:                               ;   in Loop: Header=BB11_53 Depth=2
	v_mov_b32_e32 v0, s16
	global_store_dword v4, v0, s[18:19]
	v_mov_b32_e32 v0, s17
	global_store_dword v4, v0, s[14:15]
.LBB11_55:                              ;   in Loop: Header=BB11_53 Depth=2
	s_or_b64 exec, exec, s[20:21]
	s_waitcnt vmcnt(0)
	s_barrier
	s_barrier
	s_and_saveexec_b64 s[18:19], s[6:7]
	s_cbranch_execz .LBB11_58
; %bb.56:                               ;   in Loop: Header=BB11_53 Depth=2
	s_mul_hi_i32 s21, s16, s30
	s_mul_i32 s20, s16, s30
	s_lshl_b64 s[20:21], s[20:21], 2
	s_mul_hi_i32 s39, s17, s30
	s_mul_i32 s38, s17, s30
	s_add_u32 s22, s24, s20
	s_addc_u32 s31, s25, s21
	s_lshl_b64 s[20:21], s[38:39], 2
	s_add_u32 s23, s24, s20
	s_addc_u32 s33, s25, s21
	s_mov_b64 s[20:21], 0
	v_mov_b32_e32 v2, s31
	v_mov_b32_e32 v5, s33
	;; [unrolled: 1-line block ×3, first 2 shown]
.LBB11_57:                              ;   Parent Loop BB11_50 Depth=1
                                        ;     Parent Loop BB11_53 Depth=2
                                        ; =>    This Inner Loop Header: Depth=3
	v_ashrrev_i32_e32 v1, 31, v0
	v_lshlrev_b64 v[6:7], 2, v[0:1]
	v_add_u32_e32 v0, v0, v3
	v_add_co_u32_e32 v8, vcc, s22, v6
	v_addc_co_u32_e32 v9, vcc, v2, v7, vcc
	v_add_co_u32_e32 v6, vcc, s23, v6
	v_addc_co_u32_e32 v7, vcc, v5, v7, vcc
	global_load_dword v1, v[6:7], off
	global_load_dword v10, v[8:9], off
	v_cmp_le_i32_e32 vcc, s49, v0
	s_or_b64 s[20:21], vcc, s[20:21]
	s_waitcnt vmcnt(1)
	global_store_dword v[8:9], v1, off
	s_waitcnt vmcnt(1)
	global_store_dword v[6:7], v10, off
	s_andn2_b64 exec, exec, s[20:21]
	s_cbranch_execnz .LBB11_57
.LBB11_58:                              ;   in Loop: Header=BB11_53 Depth=2
	s_or_b64 exec, exec, s[18:19]
	s_and_b64 vcc, exec, s[12:13]
	s_waitcnt vmcnt(0)
	s_barrier
	s_cbranch_vccz .LBB11_52
; %bb.59:                               ;   in Loop: Header=BB11_53 Depth=2
	s_barrier
	s_and_saveexec_b64 s[18:19], s[8:9]
	s_cbranch_execz .LBB11_51
; %bb.60:                               ;   in Loop: Header=BB11_53 Depth=2
	s_add_i32 s31, s16, 1
	s_add_i32 s33, s17, 1
	s_mov_b64 s[16:17], 0
	v_mov_b32_e32 v0, v41
	s_branch .LBB11_62
.LBB11_61:                              ;   in Loop: Header=BB11_62 Depth=3
	s_or_b64 exec, exec, s[22:23]
	v_add_u32_e32 v0, v0, v3
	v_cmp_le_i32_e32 vcc, s51, v0
	s_or_b64 s[16:17], vcc, s[16:17]
	s_andn2_b64 exec, exec, s[16:17]
	s_cbranch_execz .LBB11_51
.LBB11_62:                              ;   Parent Loop BB11_50 Depth=1
                                        ;     Parent Loop BB11_53 Depth=2
                                        ; =>    This Inner Loop Header: Depth=3
	v_ashrrev_i32_e32 v1, 31, v0
	v_lshlrev_b64 v[1:2], 2, v[0:1]
	v_mov_b32_e32 v5, s29
	v_add_co_u32_e32 v1, vcc, s28, v1
	v_addc_co_u32_e32 v2, vcc, v5, v2, vcc
	global_load_dword v6, v[1:2], off
	v_mov_b32_e32 v5, s33
	s_waitcnt vmcnt(0)
	v_cmp_eq_u32_e64 s[20:21], s31, v6
	v_cmp_ne_u32_e32 vcc, s31, v6
	s_and_saveexec_b64 s[22:23], vcc
; %bb.63:                               ;   in Loop: Header=BB11_62 Depth=3
	v_cmp_eq_u32_e32 vcc, s33, v6
	s_andn2_b64 s[20:21], s[20:21], exec
	s_and_b64 s[38:39], vcc, exec
	v_mov_b32_e32 v5, s31
	s_or_b64 s[20:21], s[20:21], s[38:39]
; %bb.64:                               ;   in Loop: Header=BB11_62 Depth=3
	s_or_b64 exec, exec, s[22:23]
	s_and_saveexec_b64 s[22:23], s[20:21]
	s_cbranch_execz .LBB11_61
; %bb.65:                               ;   in Loop: Header=BB11_62 Depth=3
	global_store_dword v[1:2], v5, off
	s_branch .LBB11_61
.LBB11_66:
	v_cmp_gt_u32_e32 vcc, s53, v41
	s_mov_b64 s[8:9], -1
	s_mov_b64 s[6:7], 0
	s_barrier
	s_and_saveexec_b64 s[4:5], vcc
	s_cbranch_execz .LBB11_72
; %bb.67:
	v_mov_b32_e32 v42, 0
	v_mov_b32_e32 v0, s50
                                        ; implicit-def: $sgpr8_sgpr9
                                        ; implicit-def: $sgpr12_sgpr13
                                        ; implicit-def: $sgpr10_sgpr11
	s_branch .LBB11_69
.LBB11_68:                              ;   in Loop: Header=BB11_69 Depth=1
	s_or_b64 exec, exec, s[14:15]
	s_xor_b64 s[14:15], s[10:11], -1
	s_and_b64 s[16:17], exec, s[12:13]
	s_or_b64 s[6:7], s[16:17], s[6:7]
	s_andn2_b64 s[8:9], s[8:9], exec
	s_and_b64 s[14:15], s[14:15], exec
	s_or_b64 s[8:9], s[8:9], s[14:15]
	s_andn2_b64 exec, exec, s[6:7]
	s_cbranch_execz .LBB11_71
.LBB11_69:                              ; =>This Inner Loop Header: Depth=1
	v_lshlrev_b64 v[1:2], 2, v[41:42]
	s_or_b64 s[10:11], s[10:11], exec
	v_add_co_u32_e32 v1, vcc, s48, v1
	v_addc_co_u32_e32 v2, vcc, v0, v2, vcc
	global_load_dword v1, v[1:2], off
	s_or_b64 s[12:13], s[12:13], exec
	s_waitcnt vmcnt(0)
	v_cmp_eq_u32_e32 vcc, v41, v1
	s_and_saveexec_b64 s[14:15], vcc
	s_cbranch_execz .LBB11_68
; %bb.70:                               ;   in Loop: Header=BB11_69 Depth=1
	v_add_u32_e32 v41, v41, v3
	v_cmp_le_u32_e32 vcc, s53, v41
	s_andn2_b64 s[12:13], s[12:13], exec
	s_and_b64 s[16:17], vcc, exec
	s_andn2_b64 s[10:11], s[10:11], exec
	s_or_b64 s[12:13], s[12:13], s[16:17]
	s_branch .LBB11_68
.LBB11_71:
	s_or_b64 exec, exec, s[6:7]
	s_mov_b64 s[6:7], exec
	s_orn2_b64 s[8:9], s[8:9], exec
.LBB11_72:
	s_or_b64 exec, exec, s[4:5]
	s_and_saveexec_b64 s[4:5], s[8:9]
	s_cbranch_execz .LBB11_74
; %bb.73:
	s_andn2_b64 s[6:7], s[6:7], exec
	s_barrier
	s_barrier
.LBB11_74:
	s_or_b64 exec, exec, s[4:5]
	s_mov_b64 s[4:5], s[34:35]
	s_and_saveexec_b64 s[8:9], s[6:7]
	s_xor_b64 s[28:29], exec, s[8:9]
	s_cbranch_execz .LBB11_76
; %bb.75:
	s_add_u32 s8, s26, 0x58
	s_addc_u32 s9, s27, 0
	s_getpc_b64 s[4:5]
	s_add_u32 s4, s4, .str.10@rel32@lo+4
	s_addc_u32 s5, s5, .str.10@rel32@hi+12
	s_getpc_b64 s[6:7]
	s_add_u32 s6, s6, .str.5@rel32@lo+4
	s_addc_u32 s7, s7, .str.5@rel32@hi+12
	s_getpc_b64 s[10:11]
	s_add_u32 s10, s10, __PRETTY_FUNCTION__._ZN9rocsolver6v33100L18syevx_permute_swapIfEEviiiPiPT_iS2_@rel32@lo+4
	s_addc_u32 s11, s11, __PRETTY_FUNCTION__._ZN9rocsolver6v33100L18syevx_permute_swapIfEEviiiPiPT_iS2_@rel32@hi+12
	s_getpc_b64 s[12:13]
	s_add_u32 s12, s12, __assert_fail@rel32@lo+4
	s_addc_u32 s13, s13, __assert_fail@rel32@hi+12
	v_mov_b32_e32 v0, s4
	v_mov_b32_e32 v1, s5
	;; [unrolled: 1-line block ×7, first 2 shown]
	s_swappc_b64 s[30:31], s[12:13]
	s_or_b64 s[4:5], s[34:35], exec
.LBB11_76:
	s_or_b64 exec, exec, s[28:29]
	s_andn2_b64 s[6:7], s[34:35], exec
	s_and_b64 s[4:5], s[4:5], exec
	s_or_b64 s[34:35], s[6:7], s[4:5]
.LBB11_77:
	s_or_b64 exec, exec, s[36:37]
	s_branch .LBB11_79
.LBB11_78:
	s_add_u32 s8, s26, 0x58
	s_addc_u32 s9, s27, 0
	s_getpc_b64 s[4:5]
	s_add_u32 s4, s4, .str.6@rel32@lo+4
	s_addc_u32 s5, s5, .str.6@rel32@hi+12
	s_getpc_b64 s[6:7]
	s_add_u32 s6, s6, .str.5@rel32@lo+4
	s_addc_u32 s7, s7, .str.5@rel32@hi+12
	s_getpc_b64 s[10:11]
	s_add_u32 s10, s10, __PRETTY_FUNCTION__._ZN9rocsolver6v33100L15syevx_sort_eigsIffPfEEviPiPT0_lT1_iilS3_lS3_S3_@rel32@lo+4
	s_addc_u32 s11, s11, __PRETTY_FUNCTION__._ZN9rocsolver6v33100L15syevx_sort_eigsIffPfEEviPiPT0_lT1_iilS3_lS3_S3_@rel32@hi+12
	s_getpc_b64 s[12:13]
	s_add_u32 s12, s12, __assert_fail@rel32@lo+4
	s_addc_u32 s13, s13, __assert_fail@rel32@hi+12
	v_mov_b32_e32 v0, s4
	v_mov_b32_e32 v1, s5
	;; [unrolled: 1-line block ×7, first 2 shown]
	s_swappc_b64 s[30:31], s[12:13]
	s_or_b64 s[34:35], s[34:35], exec
.LBB11_79:
	s_branch .LBB11_4
.LBB11_80:
	s_add_u32 s8, s26, 0x58
	s_addc_u32 s9, s27, 0
	s_getpc_b64 s[4:5]
	s_add_u32 s4, s4, .str.4@rel32@lo+4
	s_addc_u32 s5, s5, .str.4@rel32@hi+12
	s_getpc_b64 s[6:7]
	s_add_u32 s6, s6, .str.5@rel32@lo+4
	s_addc_u32 s7, s7, .str.5@rel32@hi+12
	s_getpc_b64 s[10:11]
	s_add_u32 s10, s10, __PRETTY_FUNCTION__._ZN9rocsolver6v33100L15syevx_sort_eigsIffPfEEviPiPT0_lT1_iilS3_lS3_S3_@rel32@lo+4
	s_addc_u32 s11, s11, __PRETTY_FUNCTION__._ZN9rocsolver6v33100L15syevx_sort_eigsIffPfEEviPiPT0_lT1_iilS3_lS3_S3_@rel32@hi+12
	s_getpc_b64 s[12:13]
	s_add_u32 s12, s12, __assert_fail@rel32@lo+4
	s_addc_u32 s13, s13, __assert_fail@rel32@hi+12
	v_mov_b32_e32 v0, s4
	v_mov_b32_e32 v1, s5
	;; [unrolled: 1-line block ×7, first 2 shown]
	s_swappc_b64 s[30:31], s[12:13]
	s_or_b64 s[34:35], s[34:35], exec
	s_and_saveexec_b64 s[4:5], s[34:35]
	s_cbranch_execz .LBB11_5
.LBB11_81:
	; divergent unreachable
	s_endpgm
	.section	.rodata,"a",@progbits
	.p2align	6, 0x0
	.amdhsa_kernel _ZN9rocsolver6v33100L15syevx_sort_eigsIffPfEEviPiPT0_lT1_iilS3_lS3_S3_
		.amdhsa_group_segment_fixed_size 0
		.amdhsa_private_segment_fixed_size 64
		.amdhsa_kernarg_size 344
		.amdhsa_user_sgpr_count 8
		.amdhsa_user_sgpr_private_segment_buffer 1
		.amdhsa_user_sgpr_dispatch_ptr 0
		.amdhsa_user_sgpr_queue_ptr 0
		.amdhsa_user_sgpr_kernarg_segment_ptr 1
		.amdhsa_user_sgpr_dispatch_id 0
		.amdhsa_user_sgpr_flat_scratch_init 1
		.amdhsa_user_sgpr_private_segment_size 0
		.amdhsa_uses_dynamic_stack 0
		.amdhsa_system_sgpr_private_segment_wavefront_offset 1
		.amdhsa_system_sgpr_workgroup_id_x 1
		.amdhsa_system_sgpr_workgroup_id_y 1
		.amdhsa_system_sgpr_workgroup_id_z 0
		.amdhsa_system_sgpr_workgroup_info 0
		.amdhsa_system_vgpr_workitem_id 2
		.amdhsa_next_free_vgpr 53
		.amdhsa_next_free_sgpr 55
		.amdhsa_reserve_vcc 1
		.amdhsa_reserve_flat_scratch 1
		.amdhsa_float_round_mode_32 0
		.amdhsa_float_round_mode_16_64 0
		.amdhsa_float_denorm_mode_32 3
		.amdhsa_float_denorm_mode_16_64 3
		.amdhsa_dx10_clamp 1
		.amdhsa_ieee_mode 1
		.amdhsa_fp16_overflow 0
		.amdhsa_exception_fp_ieee_invalid_op 0
		.amdhsa_exception_fp_denorm_src 0
		.amdhsa_exception_fp_ieee_div_zero 0
		.amdhsa_exception_fp_ieee_overflow 0
		.amdhsa_exception_fp_ieee_underflow 0
		.amdhsa_exception_fp_ieee_inexact 0
		.amdhsa_exception_int_div_zero 0
	.end_amdhsa_kernel
	.section	.text._ZN9rocsolver6v33100L15syevx_sort_eigsIffPfEEviPiPT0_lT1_iilS3_lS3_S3_,"axG",@progbits,_ZN9rocsolver6v33100L15syevx_sort_eigsIffPfEEviPiPT0_lT1_iilS3_lS3_S3_,comdat
.Lfunc_end11:
	.size	_ZN9rocsolver6v33100L15syevx_sort_eigsIffPfEEviPiPT0_lT1_iilS3_lS3_S3_, .Lfunc_end11-_ZN9rocsolver6v33100L15syevx_sort_eigsIffPfEEviPiPT0_lT1_iilS3_lS3_S3_
                                        ; -- End function
	.set _ZN9rocsolver6v33100L15syevx_sort_eigsIffPfEEviPiPT0_lT1_iilS3_lS3_S3_.num_vgpr, max(45, .L__assert_fail.num_vgpr)
	.set _ZN9rocsolver6v33100L15syevx_sort_eigsIffPfEEviPiPT0_lT1_iilS3_lS3_S3_.num_agpr, max(0, .L__assert_fail.num_agpr)
	.set _ZN9rocsolver6v33100L15syevx_sort_eigsIffPfEEviPiPT0_lT1_iilS3_lS3_S3_.numbered_sgpr, max(55, .L__assert_fail.numbered_sgpr)
	.set _ZN9rocsolver6v33100L15syevx_sort_eigsIffPfEEviPiPT0_lT1_iilS3_lS3_S3_.num_named_barrier, max(0, .L__assert_fail.num_named_barrier)
	.set _ZN9rocsolver6v33100L15syevx_sort_eigsIffPfEEviPiPT0_lT1_iilS3_lS3_S3_.private_seg_size, 0+max(.L__assert_fail.private_seg_size)
	.set _ZN9rocsolver6v33100L15syevx_sort_eigsIffPfEEviPiPT0_lT1_iilS3_lS3_S3_.uses_vcc, or(1, .L__assert_fail.uses_vcc)
	.set _ZN9rocsolver6v33100L15syevx_sort_eigsIffPfEEviPiPT0_lT1_iilS3_lS3_S3_.uses_flat_scratch, or(1, .L__assert_fail.uses_flat_scratch)
	.set _ZN9rocsolver6v33100L15syevx_sort_eigsIffPfEEviPiPT0_lT1_iilS3_lS3_S3_.has_dyn_sized_stack, or(0, .L__assert_fail.has_dyn_sized_stack)
	.set _ZN9rocsolver6v33100L15syevx_sort_eigsIffPfEEviPiPT0_lT1_iilS3_lS3_S3_.has_recursion, or(0, .L__assert_fail.has_recursion)
	.set _ZN9rocsolver6v33100L15syevx_sort_eigsIffPfEEviPiPT0_lT1_iilS3_lS3_S3_.has_indirect_call, or(0, .L__assert_fail.has_indirect_call)
	.section	.AMDGPU.csdata,"",@progbits
; Kernel info:
; codeLenInByte = 2672
; TotalNumSgprs: 61
; NumVgprs: 53
; ScratchSize: 64
; MemoryBound: 0
; FloatMode: 240
; IeeeMode: 1
; LDSByteSize: 0 bytes/workgroup (compile time only)
; SGPRBlocks: 7
; VGPRBlocks: 13
; NumSGPRsForWavesPerEU: 61
; NumVGPRsForWavesPerEU: 53
; Occupancy: 4
; WaveLimiterHint : 1
; COMPUTE_PGM_RSRC2:SCRATCH_EN: 1
; COMPUTE_PGM_RSRC2:USER_SGPR: 8
; COMPUTE_PGM_RSRC2:TRAP_HANDLER: 0
; COMPUTE_PGM_RSRC2:TGID_X_EN: 1
; COMPUTE_PGM_RSRC2:TGID_Y_EN: 1
; COMPUTE_PGM_RSRC2:TGID_Z_EN: 0
; COMPUTE_PGM_RSRC2:TIDIG_COMP_CNT: 2
	.section	.text._ZN9rocsolver6v33100L19bdsvdx_reorder_vectIfPfEEv13rocblas_fill_iPiPT_lT0_iilS6_,"axG",@progbits,_ZN9rocsolver6v33100L19bdsvdx_reorder_vectIfPfEEv13rocblas_fill_iPiPT_lT0_iilS6_,comdat
	.globl	_ZN9rocsolver6v33100L19bdsvdx_reorder_vectIfPfEEv13rocblas_fill_iPiPT_lT0_iilS6_ ; -- Begin function _ZN9rocsolver6v33100L19bdsvdx_reorder_vectIfPfEEv13rocblas_fill_iPiPT_lT0_iilS6_
	.p2align	8
	.type	_ZN9rocsolver6v33100L19bdsvdx_reorder_vectIfPfEEv13rocblas_fill_iPiPT_lT0_iilS6_,@function
_ZN9rocsolver6v33100L19bdsvdx_reorder_vectIfPfEEv13rocblas_fill_iPiPT_lT0_iilS6_: ; @_ZN9rocsolver6v33100L19bdsvdx_reorder_vectIfPfEEv13rocblas_fill_iPiPT_lT0_iilS6_
; %bb.0:
	s_load_dwordx8 s[8:15], s[4:5], 0x8
	s_load_dwordx2 s[20:21], s[4:5], 0x0
	s_mov_b32 s2, s7
	s_ashr_i32 s3, s7, 31
	s_lshl_b64 s[0:1], s[2:3], 2
	s_waitcnt lgkmcnt(0)
	s_add_u32 s0, s8, s0
	s_addc_u32 s1, s9, s1
	s_load_dword s22, s[0:1], 0x0
	s_waitcnt lgkmcnt(0)
	s_cmp_le_i32 s22, s21
	s_cbranch_scc1 .LBB12_4
; %bb.1:
	v_cmp_eq_u32_e32 vcc, 0, v0
	s_and_saveexec_b64 s[6:7], vcc
	s_cbranch_execz .LBB12_3
; %bb.2:
	v_mov_b32_e32 v1, 0
	v_mov_b32_e32 v2, s21
	global_store_dword v1, v2, s[0:1]
.LBB12_3:
	s_or_b64 exec, exec, s[6:7]
	s_mov_b32 s22, s21
.LBB12_4:
	s_load_dwordx4 s[16:19], s[4:5], 0x30
	s_mul_i32 s0, s2, s21
	s_lshl_b32 s0, s0, 1
	s_ashr_i32 s1, s0, 31
	s_lshl_b64 s[0:1], s[0:1], 2
	s_waitcnt lgkmcnt(0)
	s_add_u32 s18, s18, s0
	s_addc_u32 s19, s19, s1
	v_cmp_gt_i32_e32 vcc, s22, v0
	s_and_saveexec_b64 s[6:7], vcc
	s_cbranch_execz .LBB12_7
; %bb.5:
	s_mul_i32 s0, s12, s3
	s_mul_hi_u32 s1, s12, s2
	s_add_i32 s0, s1, s0
	s_mul_i32 s1, s13, s2
	s_load_dword s8, s[4:5], 0x4c
	s_add_i32 s1, s0, s1
	s_mul_i32 s0, s12, s2
	s_lshl_b64 s[0:1], s[0:1], 2
	s_add_u32 s10, s10, s0
	s_addc_u32 s0, s11, s1
	s_waitcnt lgkmcnt(0)
	s_and_b32 s11, s8, 0xffff
	s_mov_b64 s[8:9], 0
	v_mov_b32_e32 v3, s19
	v_mov_b32_e32 v4, s0
	;; [unrolled: 1-line block ×3, first 2 shown]
.LBB12_6:                               ; =>This Inner Loop Header: Depth=1
	v_ashrrev_i32_e32 v2, 31, v1
	v_lshlrev_b64 v[5:6], 2, v[1:2]
	v_add_u32_e32 v1, s11, v1
	v_add_co_u32_e32 v7, vcc, s18, v5
	v_addc_co_u32_e32 v8, vcc, v3, v6, vcc
	global_load_dword v2, v[7:8], off
	v_cmp_le_i32_e32 vcc, s22, v1
	v_add_co_u32_e64 v5, s[0:1], s10, v5
	v_addc_co_u32_e64 v6, s[0:1], v4, v6, s[0:1]
	s_or_b64 s[8:9], vcc, s[8:9]
	s_waitcnt vmcnt(0)
	v_xor_b32_e32 v2, 0x80000000, v2
	global_store_dword v[5:6], v2, off
	s_andn2_b64 exec, exec, s[8:9]
	s_cbranch_execnz .LBB12_6
.LBB12_7:
	s_or_b64 exec, exec, s[6:7]
	s_cmp_lt_i32 s22, 1
	s_waitcnt vmcnt(0)
	s_barrier
	s_cbranch_scc1 .LBB12_23
; %bb.8:
	s_load_dwordx2 s[8:9], s[4:5], 0x28
	s_mul_i32 s0, s16, s3
	s_mul_hi_u32 s1, s16, s2
	s_add_i32 s3, s1, s0
	s_mul_i32 s6, s17, s2
	s_add_i32 s3, s3, s6
	s_mul_i32 s2, s16, s2
	s_waitcnt lgkmcnt(0)
	s_ashr_i32 s1, s8, 31
	s_lshl_b64 s[2:3], s[2:3], 2
	s_mov_b32 s0, s8
	s_add_u32 s2, s14, s2
	s_addc_u32 s3, s15, s3
	s_lshl_b64 s[0:1], s[0:1], 2
	s_add_u32 s8, s2, s0
	s_addc_u32 s16, s3, s1
	s_lshl_b32 s17, s21, 1
	s_add_u32 s10, s4, 64
	s_addc_u32 s11, s5, 0
	s_cmpk_lg_i32 s20, 0x79
	s_cselect_b64 s[4:5], -1, 0
	v_cndmask_b32_e64 v1, 0, 1, s[4:5]
	v_cmp_gt_i32_e64 s[0:1], s17, v0
	v_cmp_gt_i32_e64 s[2:3], s21, v0
	v_lshlrev_b32_e32 v3, 1, v0
	s_mov_b32 s20, 0
	v_cmp_ne_u32_e64 s[4:5], 1, v1
	s_mov_b32 s23, s21
	s_mov_b32 s24, 0
	s_branch .LBB12_11
.LBB12_9:                               ;   in Loop: Header=BB12_11 Depth=1
	s_or_b64 exec, exec, s[6:7]
.LBB12_10:                              ;   in Loop: Header=BB12_11 Depth=1
	s_add_i32 s24, s24, 1
	s_add_i32 s20, s20, s9
	;; [unrolled: 1-line block ×3, first 2 shown]
	s_cmp_lg_u32 s24, s22
	s_waitcnt vmcnt(0)
	s_barrier
	s_cbranch_scc0 .LBB12_23
.LBB12_11:                              ; =>This Loop Header: Depth=1
                                        ;     Child Loop BB12_13 Depth 2
                                        ;     Child Loop BB12_17 Depth 2
                                        ;     Child Loop BB12_22 Depth 2
	s_and_saveexec_b64 s[12:13], s[0:1]
	s_cbranch_execz .LBB12_14
; %bb.12:                               ;   in Loop: Header=BB12_11 Depth=1
	s_load_dword s6, s[10:11], 0xc
	s_mov_b64 s[14:15], 0
	v_mov_b32_e32 v1, v0
	s_waitcnt lgkmcnt(0)
	s_and_b32 s25, s6, 0xffff
.LBB12_13:                              ;   Parent Loop BB12_11 Depth=1
                                        ; =>  This Inner Loop Header: Depth=2
	v_add_u32_e32 v4, s20, v1
	v_ashrrev_i32_e32 v5, 31, v4
	v_lshlrev_b64 v[4:5], 2, v[4:5]
	v_mov_b32_e32 v2, s16
	v_add_co_u32_e32 v4, vcc, s8, v4
	v_addc_co_u32_e32 v5, vcc, v2, v5, vcc
	global_load_dword v6, v[4:5], off
	v_ashrrev_i32_e32 v2, 31, v1
	v_lshlrev_b64 v[4:5], 2, v[1:2]
	v_add_u32_e32 v1, s25, v1
	v_mov_b32_e32 v7, s19
	v_cmp_le_i32_e32 vcc, s17, v1
	v_add_co_u32_e64 v4, s[6:7], s18, v4
	v_addc_co_u32_e64 v5, s[6:7], v7, v5, s[6:7]
	s_or_b64 s[14:15], vcc, s[14:15]
	s_waitcnt vmcnt(0)
	global_store_dword v[4:5], v6, off
	s_andn2_b64 exec, exec, s[14:15]
	s_cbranch_execnz .LBB12_13
.LBB12_14:                              ;   in Loop: Header=BB12_11 Depth=1
	s_or_b64 exec, exec, s[12:13]
	s_and_b64 vcc, exec, s[4:5]
	s_mov_b64 s[6:7], -1
	s_waitcnt vmcnt(0)
	s_barrier
	s_cbranch_vccnz .LBB12_19
; %bb.15:                               ;   in Loop: Header=BB12_11 Depth=1
	s_and_saveexec_b64 s[6:7], s[2:3]
	s_cbranch_execz .LBB12_18
; %bb.16:                               ;   in Loop: Header=BB12_11 Depth=1
	s_load_dword s14, s[10:11], 0xc
	s_mov_b64 s[12:13], 0
	v_mov_b32_e32 v1, v3
	v_mov_b32_e32 v4, v0
	s_waitcnt lgkmcnt(0)
	s_and_b32 s14, s14, 0xffff
	s_lshl_b32 s15, s14, 1
.LBB12_17:                              ;   Parent Loop BB12_11 Depth=1
                                        ; =>  This Inner Loop Header: Depth=2
	v_ashrrev_i32_e32 v2, 31, v1
	v_lshlrev_b64 v[5:6], 2, v[1:2]
	v_mov_b32_e32 v7, s19
	v_add_co_u32_e32 v5, vcc, s18, v5
	v_addc_co_u32_e32 v6, vcc, v7, v6, vcc
	global_load_dword v2, v[5:6], off
	v_add_u32_e32 v7, s20, v4
	v_ashrrev_i32_e32 v8, 31, v7
	v_lshlrev_b64 v[7:8], 2, v[7:8]
	v_mov_b32_e32 v9, s16
	v_add_co_u32_e32 v7, vcc, s8, v7
	v_addc_co_u32_e32 v8, vcc, v9, v8, vcc
	v_add_u32_e32 v1, s15, v1
	s_waitcnt vmcnt(0)
	v_mul_f32_e32 v2, 0x3fb504f3, v2
	global_store_dword v[7:8], v2, off
	global_load_dword v2, v[5:6], off offset:4
	v_add_u32_e32 v5, s23, v4
	v_ashrrev_i32_e32 v6, 31, v5
	v_add_u32_e32 v4, s14, v4
	v_lshlrev_b64 v[5:6], 2, v[5:6]
	v_cmp_le_i32_e32 vcc, s21, v4
	v_mov_b32_e32 v7, s16
	s_or_b64 s[12:13], vcc, s[12:13]
	v_add_co_u32_e32 v5, vcc, s8, v5
	v_addc_co_u32_e32 v6, vcc, v7, v6, vcc
	s_waitcnt vmcnt(0)
	v_mul_f32_e32 v2, 0xbfb504f3, v2
	global_store_dword v[5:6], v2, off
	s_andn2_b64 exec, exec, s[12:13]
	s_cbranch_execnz .LBB12_17
.LBB12_18:                              ;   in Loop: Header=BB12_11 Depth=1
	s_or_b64 exec, exec, s[6:7]
	s_mov_b64 s[6:7], 0
.LBB12_19:                              ;   in Loop: Header=BB12_11 Depth=1
	s_andn2_b64 vcc, exec, s[6:7]
	s_cbranch_vccnz .LBB12_10
; %bb.20:                               ;   in Loop: Header=BB12_11 Depth=1
	s_and_saveexec_b64 s[6:7], s[2:3]
	s_cbranch_execz .LBB12_9
; %bb.21:                               ;   in Loop: Header=BB12_11 Depth=1
	s_load_dword s14, s[10:11], 0xc
	s_mov_b64 s[12:13], 0
	v_mov_b32_e32 v1, v3
	v_mov_b32_e32 v4, v0
	s_waitcnt lgkmcnt(0)
	s_and_b32 s14, s14, 0xffff
	s_lshl_b32 s15, s14, 1
.LBB12_22:                              ;   Parent Loop BB12_11 Depth=1
                                        ; =>  This Inner Loop Header: Depth=2
	v_ashrrev_i32_e32 v2, 31, v1
	v_lshlrev_b64 v[5:6], 2, v[1:2]
	v_mov_b32_e32 v7, s19
	v_add_co_u32_e32 v5, vcc, s18, v5
	v_addc_co_u32_e32 v6, vcc, v7, v6, vcc
	global_load_dword v2, v[5:6], off offset:4
	v_add_u32_e32 v7, s20, v4
	v_ashrrev_i32_e32 v8, 31, v7
	v_lshlrev_b64 v[7:8], 2, v[7:8]
	v_mov_b32_e32 v9, s16
	v_add_co_u32_e32 v7, vcc, s8, v7
	v_addc_co_u32_e32 v8, vcc, v9, v8, vcc
	v_add_u32_e32 v1, s15, v1
	s_waitcnt vmcnt(0)
	v_mul_f32_e32 v2, 0x3fb504f3, v2
	global_store_dword v[7:8], v2, off
	global_load_dword v2, v[5:6], off
	v_add_u32_e32 v5, s23, v4
	v_ashrrev_i32_e32 v6, 31, v5
	v_add_u32_e32 v4, s14, v4
	v_lshlrev_b64 v[5:6], 2, v[5:6]
	v_cmp_le_i32_e32 vcc, s21, v4
	v_mov_b32_e32 v7, s16
	s_or_b64 s[12:13], vcc, s[12:13]
	v_add_co_u32_e32 v5, vcc, s8, v5
	v_addc_co_u32_e32 v6, vcc, v7, v6, vcc
	s_waitcnt vmcnt(0)
	v_mul_f32_e32 v2, 0xbfb504f3, v2
	global_store_dword v[5:6], v2, off
	s_andn2_b64 exec, exec, s[12:13]
	s_cbranch_execnz .LBB12_22
	s_branch .LBB12_9
.LBB12_23:
	s_endpgm
	.section	.rodata,"a",@progbits
	.p2align	6, 0x0
	.amdhsa_kernel _ZN9rocsolver6v33100L19bdsvdx_reorder_vectIfPfEEv13rocblas_fill_iPiPT_lT0_iilS6_
		.amdhsa_group_segment_fixed_size 0
		.amdhsa_private_segment_fixed_size 0
		.amdhsa_kernarg_size 320
		.amdhsa_user_sgpr_count 6
		.amdhsa_user_sgpr_private_segment_buffer 1
		.amdhsa_user_sgpr_dispatch_ptr 0
		.amdhsa_user_sgpr_queue_ptr 0
		.amdhsa_user_sgpr_kernarg_segment_ptr 1
		.amdhsa_user_sgpr_dispatch_id 0
		.amdhsa_user_sgpr_flat_scratch_init 0
		.amdhsa_user_sgpr_private_segment_size 0
		.amdhsa_uses_dynamic_stack 0
		.amdhsa_system_sgpr_private_segment_wavefront_offset 0
		.amdhsa_system_sgpr_workgroup_id_x 1
		.amdhsa_system_sgpr_workgroup_id_y 1
		.amdhsa_system_sgpr_workgroup_id_z 0
		.amdhsa_system_sgpr_workgroup_info 0
		.amdhsa_system_vgpr_workitem_id 0
		.amdhsa_next_free_vgpr 10
		.amdhsa_next_free_sgpr 26
		.amdhsa_reserve_vcc 1
		.amdhsa_reserve_flat_scratch 0
		.amdhsa_float_round_mode_32 0
		.amdhsa_float_round_mode_16_64 0
		.amdhsa_float_denorm_mode_32 3
		.amdhsa_float_denorm_mode_16_64 3
		.amdhsa_dx10_clamp 1
		.amdhsa_ieee_mode 1
		.amdhsa_fp16_overflow 0
		.amdhsa_exception_fp_ieee_invalid_op 0
		.amdhsa_exception_fp_denorm_src 0
		.amdhsa_exception_fp_ieee_div_zero 0
		.amdhsa_exception_fp_ieee_overflow 0
		.amdhsa_exception_fp_ieee_underflow 0
		.amdhsa_exception_fp_ieee_inexact 0
		.amdhsa_exception_int_div_zero 0
	.end_amdhsa_kernel
	.section	.text._ZN9rocsolver6v33100L19bdsvdx_reorder_vectIfPfEEv13rocblas_fill_iPiPT_lT0_iilS6_,"axG",@progbits,_ZN9rocsolver6v33100L19bdsvdx_reorder_vectIfPfEEv13rocblas_fill_iPiPT_lT0_iilS6_,comdat
.Lfunc_end12:
	.size	_ZN9rocsolver6v33100L19bdsvdx_reorder_vectIfPfEEv13rocblas_fill_iPiPT_lT0_iilS6_, .Lfunc_end12-_ZN9rocsolver6v33100L19bdsvdx_reorder_vectIfPfEEv13rocblas_fill_iPiPT_lT0_iilS6_
                                        ; -- End function
	.set _ZN9rocsolver6v33100L19bdsvdx_reorder_vectIfPfEEv13rocblas_fill_iPiPT_lT0_iilS6_.num_vgpr, 10
	.set _ZN9rocsolver6v33100L19bdsvdx_reorder_vectIfPfEEv13rocblas_fill_iPiPT_lT0_iilS6_.num_agpr, 0
	.set _ZN9rocsolver6v33100L19bdsvdx_reorder_vectIfPfEEv13rocblas_fill_iPiPT_lT0_iilS6_.numbered_sgpr, 26
	.set _ZN9rocsolver6v33100L19bdsvdx_reorder_vectIfPfEEv13rocblas_fill_iPiPT_lT0_iilS6_.num_named_barrier, 0
	.set _ZN9rocsolver6v33100L19bdsvdx_reorder_vectIfPfEEv13rocblas_fill_iPiPT_lT0_iilS6_.private_seg_size, 0
	.set _ZN9rocsolver6v33100L19bdsvdx_reorder_vectIfPfEEv13rocblas_fill_iPiPT_lT0_iilS6_.uses_vcc, 1
	.set _ZN9rocsolver6v33100L19bdsvdx_reorder_vectIfPfEEv13rocblas_fill_iPiPT_lT0_iilS6_.uses_flat_scratch, 0
	.set _ZN9rocsolver6v33100L19bdsvdx_reorder_vectIfPfEEv13rocblas_fill_iPiPT_lT0_iilS6_.has_dyn_sized_stack, 0
	.set _ZN9rocsolver6v33100L19bdsvdx_reorder_vectIfPfEEv13rocblas_fill_iPiPT_lT0_iilS6_.has_recursion, 0
	.set _ZN9rocsolver6v33100L19bdsvdx_reorder_vectIfPfEEv13rocblas_fill_iPiPT_lT0_iilS6_.has_indirect_call, 0
	.section	.AMDGPU.csdata,"",@progbits
; Kernel info:
; codeLenInByte = 1084
; TotalNumSgprs: 30
; NumVgprs: 10
; ScratchSize: 0
; MemoryBound: 0
; FloatMode: 240
; IeeeMode: 1
; LDSByteSize: 0 bytes/workgroup (compile time only)
; SGPRBlocks: 3
; VGPRBlocks: 2
; NumSGPRsForWavesPerEU: 30
; NumVGPRsForWavesPerEU: 10
; Occupancy: 10
; WaveLimiterHint : 0
; COMPUTE_PGM_RSRC2:SCRATCH_EN: 0
; COMPUTE_PGM_RSRC2:USER_SGPR: 6
; COMPUTE_PGM_RSRC2:TRAP_HANDLER: 0
; COMPUTE_PGM_RSRC2:TGID_X_EN: 1
; COMPUTE_PGM_RSRC2:TGID_Y_EN: 1
; COMPUTE_PGM_RSRC2:TGID_Z_EN: 0
; COMPUTE_PGM_RSRC2:TIDIG_COMP_CNT: 0
	.section	.text._ZN9rocsolver6v33100L10reset_infoIdiiEEvPT_T0_T1_S4_,"axG",@progbits,_ZN9rocsolver6v33100L10reset_infoIdiiEEvPT_T0_T1_S4_,comdat
	.globl	_ZN9rocsolver6v33100L10reset_infoIdiiEEvPT_T0_T1_S4_ ; -- Begin function _ZN9rocsolver6v33100L10reset_infoIdiiEEvPT_T0_T1_S4_
	.p2align	8
	.type	_ZN9rocsolver6v33100L10reset_infoIdiiEEvPT_T0_T1_S4_,@function
_ZN9rocsolver6v33100L10reset_infoIdiiEEvPT_T0_T1_S4_: ; @_ZN9rocsolver6v33100L10reset_infoIdiiEEvPT_T0_T1_S4_
; %bb.0:
	s_load_dword s7, s[4:5], 0x24
	s_load_dwordx4 s[0:3], s[4:5], 0x8
	s_waitcnt lgkmcnt(0)
	s_and_b32 s3, s7, 0xffff
	s_mul_i32 s6, s6, s3
	v_add_u32_e32 v0, s6, v0
	v_cmp_gt_i32_e32 vcc, s0, v0
	s_and_saveexec_b64 s[6:7], vcc
	s_cbranch_execz .LBB13_2
; %bb.1:
	v_mul_lo_u32 v3, v0, s2
	v_cvt_f64_i32_e32 v[1:2], s1
	s_load_dwordx2 s[0:1], s[4:5], 0x0
	v_cvt_f64_i32_e32 v[3:4], v3
	v_add_f64 v[2:3], v[1:2], v[3:4]
	v_ashrrev_i32_e32 v1, 31, v0
	v_lshlrev_b64 v[0:1], 3, v[0:1]
	s_waitcnt lgkmcnt(0)
	v_mov_b32_e32 v4, s1
	v_add_co_u32_e32 v0, vcc, s0, v0
	v_addc_co_u32_e32 v1, vcc, v4, v1, vcc
	global_store_dwordx2 v[0:1], v[2:3], off
.LBB13_2:
	s_endpgm
	.section	.rodata,"a",@progbits
	.p2align	6, 0x0
	.amdhsa_kernel _ZN9rocsolver6v33100L10reset_infoIdiiEEvPT_T0_T1_S4_
		.amdhsa_group_segment_fixed_size 0
		.amdhsa_private_segment_fixed_size 0
		.amdhsa_kernarg_size 280
		.amdhsa_user_sgpr_count 6
		.amdhsa_user_sgpr_private_segment_buffer 1
		.amdhsa_user_sgpr_dispatch_ptr 0
		.amdhsa_user_sgpr_queue_ptr 0
		.amdhsa_user_sgpr_kernarg_segment_ptr 1
		.amdhsa_user_sgpr_dispatch_id 0
		.amdhsa_user_sgpr_flat_scratch_init 0
		.amdhsa_user_sgpr_private_segment_size 0
		.amdhsa_uses_dynamic_stack 0
		.amdhsa_system_sgpr_private_segment_wavefront_offset 0
		.amdhsa_system_sgpr_workgroup_id_x 1
		.amdhsa_system_sgpr_workgroup_id_y 0
		.amdhsa_system_sgpr_workgroup_id_z 0
		.amdhsa_system_sgpr_workgroup_info 0
		.amdhsa_system_vgpr_workitem_id 0
		.amdhsa_next_free_vgpr 5
		.amdhsa_next_free_sgpr 8
		.amdhsa_reserve_vcc 1
		.amdhsa_reserve_flat_scratch 0
		.amdhsa_float_round_mode_32 0
		.amdhsa_float_round_mode_16_64 0
		.amdhsa_float_denorm_mode_32 3
		.amdhsa_float_denorm_mode_16_64 3
		.amdhsa_dx10_clamp 1
		.amdhsa_ieee_mode 1
		.amdhsa_fp16_overflow 0
		.amdhsa_exception_fp_ieee_invalid_op 0
		.amdhsa_exception_fp_denorm_src 0
		.amdhsa_exception_fp_ieee_div_zero 0
		.amdhsa_exception_fp_ieee_overflow 0
		.amdhsa_exception_fp_ieee_underflow 0
		.amdhsa_exception_fp_ieee_inexact 0
		.amdhsa_exception_int_div_zero 0
	.end_amdhsa_kernel
	.section	.text._ZN9rocsolver6v33100L10reset_infoIdiiEEvPT_T0_T1_S4_,"axG",@progbits,_ZN9rocsolver6v33100L10reset_infoIdiiEEvPT_T0_T1_S4_,comdat
.Lfunc_end13:
	.size	_ZN9rocsolver6v33100L10reset_infoIdiiEEvPT_T0_T1_S4_, .Lfunc_end13-_ZN9rocsolver6v33100L10reset_infoIdiiEEvPT_T0_T1_S4_
                                        ; -- End function
	.set _ZN9rocsolver6v33100L10reset_infoIdiiEEvPT_T0_T1_S4_.num_vgpr, 5
	.set _ZN9rocsolver6v33100L10reset_infoIdiiEEvPT_T0_T1_S4_.num_agpr, 0
	.set _ZN9rocsolver6v33100L10reset_infoIdiiEEvPT_T0_T1_S4_.numbered_sgpr, 8
	.set _ZN9rocsolver6v33100L10reset_infoIdiiEEvPT_T0_T1_S4_.num_named_barrier, 0
	.set _ZN9rocsolver6v33100L10reset_infoIdiiEEvPT_T0_T1_S4_.private_seg_size, 0
	.set _ZN9rocsolver6v33100L10reset_infoIdiiEEvPT_T0_T1_S4_.uses_vcc, 1
	.set _ZN9rocsolver6v33100L10reset_infoIdiiEEvPT_T0_T1_S4_.uses_flat_scratch, 0
	.set _ZN9rocsolver6v33100L10reset_infoIdiiEEvPT_T0_T1_S4_.has_dyn_sized_stack, 0
	.set _ZN9rocsolver6v33100L10reset_infoIdiiEEvPT_T0_T1_S4_.has_recursion, 0
	.set _ZN9rocsolver6v33100L10reset_infoIdiiEEvPT_T0_T1_S4_.has_indirect_call, 0
	.section	.AMDGPU.csdata,"",@progbits
; Kernel info:
; codeLenInByte = 120
; TotalNumSgprs: 12
; NumVgprs: 5
; ScratchSize: 0
; MemoryBound: 0
; FloatMode: 240
; IeeeMode: 1
; LDSByteSize: 0 bytes/workgroup (compile time only)
; SGPRBlocks: 1
; VGPRBlocks: 1
; NumSGPRsForWavesPerEU: 12
; NumVGPRsForWavesPerEU: 5
; Occupancy: 10
; WaveLimiterHint : 0
; COMPUTE_PGM_RSRC2:SCRATCH_EN: 0
; COMPUTE_PGM_RSRC2:USER_SGPR: 6
; COMPUTE_PGM_RSRC2:TRAP_HANDLER: 0
; COMPUTE_PGM_RSRC2:TGID_X_EN: 1
; COMPUTE_PGM_RSRC2:TGID_Y_EN: 0
; COMPUTE_PGM_RSRC2:TGID_Z_EN: 0
; COMPUTE_PGM_RSRC2:TIDIG_COMP_CNT: 0
	.section	.text._ZN9rocsolver6v33100L8copy_matIdPdS2_NS0_7no_maskEEEviiT0_iilT1_iilT2_13rocblas_fill_17rocblas_diagonal_,"axG",@progbits,_ZN9rocsolver6v33100L8copy_matIdPdS2_NS0_7no_maskEEEviiT0_iilT1_iilT2_13rocblas_fill_17rocblas_diagonal_,comdat
	.globl	_ZN9rocsolver6v33100L8copy_matIdPdS2_NS0_7no_maskEEEviiT0_iilT1_iilT2_13rocblas_fill_17rocblas_diagonal_ ; -- Begin function _ZN9rocsolver6v33100L8copy_matIdPdS2_NS0_7no_maskEEEviiT0_iilT1_iilT2_13rocblas_fill_17rocblas_diagonal_
	.p2align	8
	.type	_ZN9rocsolver6v33100L8copy_matIdPdS2_NS0_7no_maskEEEviiT0_iilT1_iilT2_13rocblas_fill_17rocblas_diagonal_,@function
_ZN9rocsolver6v33100L8copy_matIdPdS2_NS0_7no_maskEEEviiT0_iilT1_iilT2_13rocblas_fill_17rocblas_diagonal_: ; @_ZN9rocsolver6v33100L8copy_matIdPdS2_NS0_7no_maskEEEviiT0_iilT1_iilT2_13rocblas_fill_17rocblas_diagonal_
; %bb.0:
	s_load_dword s2, s[4:5], 0x54
	s_load_dwordx2 s[0:1], s[4:5], 0x0
	s_waitcnt lgkmcnt(0)
	s_lshr_b32 s3, s2, 16
	s_and_b32 s2, s2, 0xffff
	s_mul_i32 s7, s7, s3
	s_mul_i32 s6, s6, s2
	v_add_u32_e32 v1, s7, v1
	v_add_u32_e32 v0, s6, v0
	v_cmp_gt_u32_e32 vcc, s0, v0
	v_cmp_gt_u32_e64 s[0:1], s1, v1
	s_and_b64 s[0:1], s[0:1], vcc
	s_and_saveexec_b64 s[2:3], s[0:1]
	s_cbranch_execz .LBB14_14
; %bb.1:
	s_load_dwordx2 s[2:3], s[4:5], 0x3c
	s_waitcnt lgkmcnt(0)
	s_cmpk_lt_i32 s2, 0x7a
	s_cbranch_scc1 .LBB14_4
; %bb.2:
	s_cmpk_gt_i32 s2, 0x7a
	s_cbranch_scc0 .LBB14_5
; %bb.3:
	s_cmpk_lg_i32 s2, 0x7b
	s_mov_b64 s[6:7], -1
	s_cselect_b64 s[10:11], -1, 0
	s_cbranch_execz .LBB14_6
	s_branch .LBB14_7
.LBB14_4:
	s_mov_b64 s[10:11], 0
	s_mov_b64 s[6:7], 0
	s_cbranch_execnz .LBB14_8
	s_branch .LBB14_10
.LBB14_5:
	s_mov_b64 s[6:7], 0
	s_mov_b64 s[10:11], 0
.LBB14_6:
	v_cmp_gt_u32_e32 vcc, v0, v1
	v_cmp_le_u32_e64 s[0:1], v0, v1
	s_andn2_b64 s[6:7], s[6:7], exec
	s_and_b64 s[12:13], vcc, exec
	s_andn2_b64 s[10:11], s[10:11], exec
	s_and_b64 s[0:1], s[0:1], exec
	s_or_b64 s[6:7], s[6:7], s[12:13]
	s_or_b64 s[10:11], s[10:11], s[0:1]
.LBB14_7:
	s_branch .LBB14_10
.LBB14_8:
	s_cmpk_eq_i32 s2, 0x79
	s_mov_b64 s[10:11], -1
	s_cbranch_scc0 .LBB14_10
; %bb.9:
	v_cmp_gt_u32_e32 vcc, v1, v0
	v_cmp_le_u32_e64 s[0:1], v1, v0
	s_andn2_b64 s[6:7], s[6:7], exec
	s_and_b64 s[10:11], vcc, exec
	s_or_b64 s[6:7], s[6:7], s[10:11]
	s_orn2_b64 s[10:11], s[0:1], exec
.LBB14_10:
	s_and_saveexec_b64 s[0:1], s[10:11]
; %bb.11:
	s_cmpk_eq_i32 s3, 0x83
	s_cselect_b64 s[2:3], -1, 0
	v_cmp_eq_u32_e32 vcc, v0, v1
	s_and_b64 s[2:3], s[2:3], vcc
	s_andn2_b64 s[6:7], s[6:7], exec
	s_and_b64 s[2:3], s[2:3], exec
	s_or_b64 s[6:7], s[6:7], s[2:3]
; %bb.12:
	s_or_b64 exec, exec, s[0:1]
	s_and_b64 exec, exec, s[6:7]
	s_cbranch_execz .LBB14_14
; %bb.13:
	s_load_dwordx8 s[12:19], s[4:5], 0x8
	s_waitcnt lgkmcnt(0)
	s_mul_i32 s3, s17, s8
	s_mul_hi_u32 s6, s16, s8
	s_mul_i32 s2, s16, s8
	s_add_i32 s3, s6, s3
	s_ashr_i32 s1, s14, 31
	s_lshl_b64 s[2:3], s[2:3], 3
	s_add_u32 s6, s12, s2
	s_addc_u32 s7, s13, s3
	v_mad_u64_u32 v[2:3], s[2:3], v1, s15, v[0:1]
	s_mov_b32 s0, s14
	s_lshl_b64 s[0:1], s[0:1], 3
	v_mov_b32_e32 v3, 0
	s_add_u32 s0, s6, s0
	v_lshlrev_b64 v[4:5], 3, v[2:3]
	s_addc_u32 s1, s7, s1
	v_mov_b32_e32 v2, s1
	v_add_co_u32_e32 v4, vcc, s0, v4
	v_addc_co_u32_e32 v5, vcc, v2, v5, vcc
	global_load_dwordx2 v[4:5], v[4:5], off
	s_load_dwordx4 s[0:3], s[4:5], 0x28
	s_waitcnt lgkmcnt(0)
	s_ashr_i32 s5, s0, 31
	s_mov_b32 s4, s0
	s_mul_i32 s0, s3, s8
	s_mul_hi_u32 s3, s2, s8
	s_add_i32 s3, s3, s0
	s_mul_i32 s2, s2, s8
	v_mad_u64_u32 v[0:1], s[0:1], v1, s1, v[0:1]
	s_lshl_b64 s[2:3], s[2:3], 3
	s_add_u32 s6, s18, s2
	s_addc_u32 s7, s19, s3
	s_lshl_b64 s[2:3], s[4:5], 3
	v_mov_b32_e32 v1, v3
	s_add_u32 s0, s6, s2
	v_lshlrev_b64 v[0:1], 3, v[0:1]
	s_addc_u32 s1, s7, s3
	v_mov_b32_e32 v2, s1
	v_add_co_u32_e32 v0, vcc, s0, v0
	v_addc_co_u32_e32 v1, vcc, v2, v1, vcc
	s_waitcnt vmcnt(0)
	global_store_dwordx2 v[0:1], v[4:5], off
.LBB14_14:
	s_endpgm
	.section	.rodata,"a",@progbits
	.p2align	6, 0x0
	.amdhsa_kernel _ZN9rocsolver6v33100L8copy_matIdPdS2_NS0_7no_maskEEEviiT0_iilT1_iilT2_13rocblas_fill_17rocblas_diagonal_
		.amdhsa_group_segment_fixed_size 0
		.amdhsa_private_segment_fixed_size 0
		.amdhsa_kernarg_size 328
		.amdhsa_user_sgpr_count 6
		.amdhsa_user_sgpr_private_segment_buffer 1
		.amdhsa_user_sgpr_dispatch_ptr 0
		.amdhsa_user_sgpr_queue_ptr 0
		.amdhsa_user_sgpr_kernarg_segment_ptr 1
		.amdhsa_user_sgpr_dispatch_id 0
		.amdhsa_user_sgpr_flat_scratch_init 0
		.amdhsa_user_sgpr_private_segment_size 0
		.amdhsa_uses_dynamic_stack 0
		.amdhsa_system_sgpr_private_segment_wavefront_offset 0
		.amdhsa_system_sgpr_workgroup_id_x 1
		.amdhsa_system_sgpr_workgroup_id_y 1
		.amdhsa_system_sgpr_workgroup_id_z 1
		.amdhsa_system_sgpr_workgroup_info 0
		.amdhsa_system_vgpr_workitem_id 1
		.amdhsa_next_free_vgpr 6
		.amdhsa_next_free_sgpr 20
		.amdhsa_reserve_vcc 1
		.amdhsa_reserve_flat_scratch 0
		.amdhsa_float_round_mode_32 0
		.amdhsa_float_round_mode_16_64 0
		.amdhsa_float_denorm_mode_32 3
		.amdhsa_float_denorm_mode_16_64 3
		.amdhsa_dx10_clamp 1
		.amdhsa_ieee_mode 1
		.amdhsa_fp16_overflow 0
		.amdhsa_exception_fp_ieee_invalid_op 0
		.amdhsa_exception_fp_denorm_src 0
		.amdhsa_exception_fp_ieee_div_zero 0
		.amdhsa_exception_fp_ieee_overflow 0
		.amdhsa_exception_fp_ieee_underflow 0
		.amdhsa_exception_fp_ieee_inexact 0
		.amdhsa_exception_int_div_zero 0
	.end_amdhsa_kernel
	.section	.text._ZN9rocsolver6v33100L8copy_matIdPdS2_NS0_7no_maskEEEviiT0_iilT1_iilT2_13rocblas_fill_17rocblas_diagonal_,"axG",@progbits,_ZN9rocsolver6v33100L8copy_matIdPdS2_NS0_7no_maskEEEviiT0_iilT1_iilT2_13rocblas_fill_17rocblas_diagonal_,comdat
.Lfunc_end14:
	.size	_ZN9rocsolver6v33100L8copy_matIdPdS2_NS0_7no_maskEEEviiT0_iilT1_iilT2_13rocblas_fill_17rocblas_diagonal_, .Lfunc_end14-_ZN9rocsolver6v33100L8copy_matIdPdS2_NS0_7no_maskEEEviiT0_iilT1_iilT2_13rocblas_fill_17rocblas_diagonal_
                                        ; -- End function
	.set _ZN9rocsolver6v33100L8copy_matIdPdS2_NS0_7no_maskEEEviiT0_iilT1_iilT2_13rocblas_fill_17rocblas_diagonal_.num_vgpr, 6
	.set _ZN9rocsolver6v33100L8copy_matIdPdS2_NS0_7no_maskEEEviiT0_iilT1_iilT2_13rocblas_fill_17rocblas_diagonal_.num_agpr, 0
	.set _ZN9rocsolver6v33100L8copy_matIdPdS2_NS0_7no_maskEEEviiT0_iilT1_iilT2_13rocblas_fill_17rocblas_diagonal_.numbered_sgpr, 20
	.set _ZN9rocsolver6v33100L8copy_matIdPdS2_NS0_7no_maskEEEviiT0_iilT1_iilT2_13rocblas_fill_17rocblas_diagonal_.num_named_barrier, 0
	.set _ZN9rocsolver6v33100L8copy_matIdPdS2_NS0_7no_maskEEEviiT0_iilT1_iilT2_13rocblas_fill_17rocblas_diagonal_.private_seg_size, 0
	.set _ZN9rocsolver6v33100L8copy_matIdPdS2_NS0_7no_maskEEEviiT0_iilT1_iilT2_13rocblas_fill_17rocblas_diagonal_.uses_vcc, 1
	.set _ZN9rocsolver6v33100L8copy_matIdPdS2_NS0_7no_maskEEEviiT0_iilT1_iilT2_13rocblas_fill_17rocblas_diagonal_.uses_flat_scratch, 0
	.set _ZN9rocsolver6v33100L8copy_matIdPdS2_NS0_7no_maskEEEviiT0_iilT1_iilT2_13rocblas_fill_17rocblas_diagonal_.has_dyn_sized_stack, 0
	.set _ZN9rocsolver6v33100L8copy_matIdPdS2_NS0_7no_maskEEEviiT0_iilT1_iilT2_13rocblas_fill_17rocblas_diagonal_.has_recursion, 0
	.set _ZN9rocsolver6v33100L8copy_matIdPdS2_NS0_7no_maskEEEviiT0_iilT1_iilT2_13rocblas_fill_17rocblas_diagonal_.has_indirect_call, 0
	.section	.AMDGPU.csdata,"",@progbits
; Kernel info:
; codeLenInByte = 476
; TotalNumSgprs: 24
; NumVgprs: 6
; ScratchSize: 0
; MemoryBound: 0
; FloatMode: 240
; IeeeMode: 1
; LDSByteSize: 0 bytes/workgroup (compile time only)
; SGPRBlocks: 2
; VGPRBlocks: 1
; NumSGPRsForWavesPerEU: 24
; NumVGPRsForWavesPerEU: 6
; Occupancy: 10
; WaveLimiterHint : 0
; COMPUTE_PGM_RSRC2:SCRATCH_EN: 0
; COMPUTE_PGM_RSRC2:USER_SGPR: 6
; COMPUTE_PGM_RSRC2:TRAP_HANDLER: 0
; COMPUTE_PGM_RSRC2:TGID_X_EN: 1
; COMPUTE_PGM_RSRC2:TGID_Y_EN: 1
; COMPUTE_PGM_RSRC2:TGID_Z_EN: 1
; COMPUTE_PGM_RSRC2:TIDIG_COMP_CNT: 1
	.section	.text._ZN9rocsolver6v33100L18stebz_case1_kernelIdPdEEv15rocblas_erange_T_S4_T0_ilPiS6_PS4_lS6_lS6_li,"axG",@progbits,_ZN9rocsolver6v33100L18stebz_case1_kernelIdPdEEv15rocblas_erange_T_S4_T0_ilPiS6_PS4_lS6_lS6_li,comdat
	.globl	_ZN9rocsolver6v33100L18stebz_case1_kernelIdPdEEv15rocblas_erange_T_S4_T0_ilPiS6_PS4_lS6_lS6_li ; -- Begin function _ZN9rocsolver6v33100L18stebz_case1_kernelIdPdEEv15rocblas_erange_T_S4_T0_ilPiS6_PS4_lS6_lS6_li
	.p2align	8
	.type	_ZN9rocsolver6v33100L18stebz_case1_kernelIdPdEEv15rocblas_erange_T_S4_T0_ilPiS6_PS4_lS6_lS6_li,@function
_ZN9rocsolver6v33100L18stebz_case1_kernelIdPdEEv15rocblas_erange_T_S4_T0_ilPiS6_PS4_lS6_lS6_li: ; @_ZN9rocsolver6v33100L18stebz_case1_kernelIdPdEEv15rocblas_erange_T_S4_T0_ilPiS6_PS4_lS6_lS6_li
; %bb.0:
	s_load_dword s0, s[4:5], 0x84
	s_load_dword s1, s[4:5], 0x70
	s_waitcnt lgkmcnt(0)
	s_and_b32 s0, s0, 0xffff
	s_mul_i32 s6, s6, s0
	v_add_u32_e32 v0, s6, v0
	v_cmp_gt_i32_e32 vcc, s1, v0
	s_and_saveexec_b64 s[0:1], vcc
	s_cbranch_execz .LBB15_7
; %bb.1:
	s_load_dwordx16 s[8:23], s[4:5], 0x28
	s_load_dword s0, s[4:5], 0x20
	v_ashrrev_i32_e32 v1, 31, v0
	v_mov_b32_e32 v10, 1
	s_waitcnt lgkmcnt(0)
	v_mul_lo_u32 v4, s9, v0
	v_mul_lo_u32 v5, s8, v1
	v_mad_u64_u32 v[2:3], s[2:3], s8, v0, 0
	s_load_dwordx2 s[2:3], s[4:5], 0x18
	s_ashr_i32 s1, s0, 31
	v_add3_u32 v3, v3, v5, v4
	v_lshlrev_b64 v[2:3], 3, v[2:3]
	s_lshl_b64 s[0:1], s[0:1], 3
	s_waitcnt lgkmcnt(0)
	v_mov_b32_e32 v4, s3
	v_add_co_u32_e32 v2, vcc, s2, v2
	v_addc_co_u32_e32 v3, vcc, v4, v3, vcc
	v_mov_b32_e32 v4, s1
	v_add_co_u32_e32 v2, vcc, s0, v2
	v_addc_co_u32_e32 v3, vcc, v3, v4, vcc
	global_load_dwordx2 v[4:5], v[2:3], off
	s_load_dwordx2 s[0:1], s[4:5], 0x68
	v_mov_b32_e32 v9, s13
	s_waitcnt lgkmcnt(0)
	v_mul_lo_u32 v6, s1, v0
	v_mul_lo_u32 v7, s0, v1
	v_mad_u64_u32 v[2:3], s[0:1], s0, v0, 0
	s_load_dword s0, s[4:5], 0x0
	v_add3_u32 v3, v3, v7, v6
	v_lshlrev_b64 v[2:3], 2, v[2:3]
	v_mov_b32_e32 v7, s23
	v_add_co_u32_e32 v6, vcc, s22, v2
	v_addc_co_u32_e32 v7, vcc, v7, v3, vcc
	v_lshlrev_b64 v[2:3], 2, v[0:1]
	s_waitcnt lgkmcnt(0)
	s_cmpk_lg_i32 s0, 0xe8
	v_add_co_u32_e32 v8, vcc, s12, v2
	v_addc_co_u32_e32 v9, vcc, v9, v3, vcc
	s_cselect_b64 s[6:7], -1, 0
	s_and_b64 vcc, exec, s[6:7]
	global_store_dword v[8:9], v10, off
	global_store_dword v[6:7], v10, off
	s_cbranch_vccnz .LBB15_3
; %bb.2:
	s_load_dwordx4 s[0:3], s[4:5], 0x8
	s_andn2_b64 s[4:5], s[6:7], exec
	s_waitcnt vmcnt(2) lgkmcnt(0)
	v_cmp_nge_f64_e32 vcc, s[0:1], v[4:5]
	v_cmp_nlt_f64_e64 s[0:1], s[2:3], v[4:5]
	s_mov_b64 s[2:3], -1
	s_and_b64 s[0:1], vcc, s[0:1]
	s_and_b64 s[0:1], s[0:1], exec
	s_or_b64 s[6:7], s[4:5], s[0:1]
	s_and_saveexec_b64 s[0:1], s[6:7]
	s_xor_b64 s[0:1], exec, s[0:1]
	s_cbranch_execnz .LBB15_4
	s_branch .LBB15_5
.LBB15_3:
	s_mov_b64 s[2:3], 0
	s_and_saveexec_b64 s[0:1], s[6:7]
	s_xor_b64 s[0:1], exec, s[0:1]
	s_cbranch_execz .LBB15_5
.LBB15_4:
	v_mul_lo_u32 v8, s17, v0
	v_mul_lo_u32 v9, s16, v1
	v_mad_u64_u32 v[6:7], s[4:5], s16, v0, 0
	v_mul_lo_u32 v10, s20, v1
	s_andn2_b64 s[2:3], s[2:3], exec
	v_add3_u32 v7, v7, v9, v8
	v_mul_lo_u32 v9, s21, v0
	v_mad_u64_u32 v[0:1], s[4:5], s20, v0, 0
	v_lshlrev_b64 v[6:7], 3, v[6:7]
	v_mov_b32_e32 v8, s15
	v_add3_u32 v1, v1, v10, v9
	v_add_co_u32_e32 v6, vcc, s14, v6
	v_lshlrev_b64 v[0:1], 2, v[0:1]
	v_addc_co_u32_e32 v7, vcc, v8, v7, vcc
	v_mov_b32_e32 v8, s19
	v_add_co_u32_e32 v0, vcc, s18, v0
	v_addc_co_u32_e32 v1, vcc, v8, v1, vcc
	v_mov_b32_e32 v9, s11
	v_add_co_u32_e32 v8, vcc, s10, v2
	v_addc_co_u32_e32 v9, vcc, v9, v3, vcc
	v_mov_b32_e32 v10, 1
	global_store_dword v[8:9], v10, off
	s_waitcnt vmcnt(3)
	global_store_dwordx2 v[6:7], v[4:5], off
	global_store_dword v[0:1], v10, off
.LBB15_5:
	s_or_b64 exec, exec, s[0:1]
	s_and_b64 exec, exec, s[2:3]
	s_cbranch_execz .LBB15_7
; %bb.6:
	v_mov_b32_e32 v1, s11
	v_add_co_u32_e32 v0, vcc, s10, v2
	v_addc_co_u32_e32 v1, vcc, v1, v3, vcc
	v_mov_b32_e32 v2, 0
	global_store_dword v[0:1], v2, off
.LBB15_7:
	s_endpgm
	.section	.rodata,"a",@progbits
	.p2align	6, 0x0
	.amdhsa_kernel _ZN9rocsolver6v33100L18stebz_case1_kernelIdPdEEv15rocblas_erange_T_S4_T0_ilPiS6_PS4_lS6_lS6_li
		.amdhsa_group_segment_fixed_size 0
		.amdhsa_private_segment_fixed_size 0
		.amdhsa_kernarg_size 376
		.amdhsa_user_sgpr_count 6
		.amdhsa_user_sgpr_private_segment_buffer 1
		.amdhsa_user_sgpr_dispatch_ptr 0
		.amdhsa_user_sgpr_queue_ptr 0
		.amdhsa_user_sgpr_kernarg_segment_ptr 1
		.amdhsa_user_sgpr_dispatch_id 0
		.amdhsa_user_sgpr_flat_scratch_init 0
		.amdhsa_user_sgpr_private_segment_size 0
		.amdhsa_uses_dynamic_stack 0
		.amdhsa_system_sgpr_private_segment_wavefront_offset 0
		.amdhsa_system_sgpr_workgroup_id_x 1
		.amdhsa_system_sgpr_workgroup_id_y 0
		.amdhsa_system_sgpr_workgroup_id_z 0
		.amdhsa_system_sgpr_workgroup_info 0
		.amdhsa_system_vgpr_workitem_id 0
		.amdhsa_next_free_vgpr 11
		.amdhsa_next_free_sgpr 24
		.amdhsa_reserve_vcc 1
		.amdhsa_reserve_flat_scratch 0
		.amdhsa_float_round_mode_32 0
		.amdhsa_float_round_mode_16_64 0
		.amdhsa_float_denorm_mode_32 3
		.amdhsa_float_denorm_mode_16_64 3
		.amdhsa_dx10_clamp 1
		.amdhsa_ieee_mode 1
		.amdhsa_fp16_overflow 0
		.amdhsa_exception_fp_ieee_invalid_op 0
		.amdhsa_exception_fp_denorm_src 0
		.amdhsa_exception_fp_ieee_div_zero 0
		.amdhsa_exception_fp_ieee_overflow 0
		.amdhsa_exception_fp_ieee_underflow 0
		.amdhsa_exception_fp_ieee_inexact 0
		.amdhsa_exception_int_div_zero 0
	.end_amdhsa_kernel
	.section	.text._ZN9rocsolver6v33100L18stebz_case1_kernelIdPdEEv15rocblas_erange_T_S4_T0_ilPiS6_PS4_lS6_lS6_li,"axG",@progbits,_ZN9rocsolver6v33100L18stebz_case1_kernelIdPdEEv15rocblas_erange_T_S4_T0_ilPiS6_PS4_lS6_lS6_li,comdat
.Lfunc_end15:
	.size	_ZN9rocsolver6v33100L18stebz_case1_kernelIdPdEEv15rocblas_erange_T_S4_T0_ilPiS6_PS4_lS6_lS6_li, .Lfunc_end15-_ZN9rocsolver6v33100L18stebz_case1_kernelIdPdEEv15rocblas_erange_T_S4_T0_ilPiS6_PS4_lS6_lS6_li
                                        ; -- End function
	.set _ZN9rocsolver6v33100L18stebz_case1_kernelIdPdEEv15rocblas_erange_T_S4_T0_ilPiS6_PS4_lS6_lS6_li.num_vgpr, 11
	.set _ZN9rocsolver6v33100L18stebz_case1_kernelIdPdEEv15rocblas_erange_T_S4_T0_ilPiS6_PS4_lS6_lS6_li.num_agpr, 0
	.set _ZN9rocsolver6v33100L18stebz_case1_kernelIdPdEEv15rocblas_erange_T_S4_T0_ilPiS6_PS4_lS6_lS6_li.numbered_sgpr, 24
	.set _ZN9rocsolver6v33100L18stebz_case1_kernelIdPdEEv15rocblas_erange_T_S4_T0_ilPiS6_PS4_lS6_lS6_li.num_named_barrier, 0
	.set _ZN9rocsolver6v33100L18stebz_case1_kernelIdPdEEv15rocblas_erange_T_S4_T0_ilPiS6_PS4_lS6_lS6_li.private_seg_size, 0
	.set _ZN9rocsolver6v33100L18stebz_case1_kernelIdPdEEv15rocblas_erange_T_S4_T0_ilPiS6_PS4_lS6_lS6_li.uses_vcc, 1
	.set _ZN9rocsolver6v33100L18stebz_case1_kernelIdPdEEv15rocblas_erange_T_S4_T0_ilPiS6_PS4_lS6_lS6_li.uses_flat_scratch, 0
	.set _ZN9rocsolver6v33100L18stebz_case1_kernelIdPdEEv15rocblas_erange_T_S4_T0_ilPiS6_PS4_lS6_lS6_li.has_dyn_sized_stack, 0
	.set _ZN9rocsolver6v33100L18stebz_case1_kernelIdPdEEv15rocblas_erange_T_S4_T0_ilPiS6_PS4_lS6_lS6_li.has_recursion, 0
	.set _ZN9rocsolver6v33100L18stebz_case1_kernelIdPdEEv15rocblas_erange_T_S4_T0_ilPiS6_PS4_lS6_lS6_li.has_indirect_call, 0
	.section	.AMDGPU.csdata,"",@progbits
; Kernel info:
; codeLenInByte = 564
; TotalNumSgprs: 28
; NumVgprs: 11
; ScratchSize: 0
; MemoryBound: 0
; FloatMode: 240
; IeeeMode: 1
; LDSByteSize: 0 bytes/workgroup (compile time only)
; SGPRBlocks: 3
; VGPRBlocks: 2
; NumSGPRsForWavesPerEU: 28
; NumVGPRsForWavesPerEU: 11
; Occupancy: 10
; WaveLimiterHint : 0
; COMPUTE_PGM_RSRC2:SCRATCH_EN: 0
; COMPUTE_PGM_RSRC2:USER_SGPR: 6
; COMPUTE_PGM_RSRC2:TRAP_HANDLER: 0
; COMPUTE_PGM_RSRC2:TGID_X_EN: 1
; COMPUTE_PGM_RSRC2:TGID_Y_EN: 0
; COMPUTE_PGM_RSRC2:TGID_Z_EN: 0
; COMPUTE_PGM_RSRC2:TIDIG_COMP_CNT: 0
	.section	.text._ZN9rocsolver6v33100L22stebz_splitting_kernelIdPdEEv15rocblas_erange_iT_S4_iiT0_iiS5_iiPiPS4_lS6_lS6_S7_S7_S7_S7_S6_S4_S4_,"axG",@progbits,_ZN9rocsolver6v33100L22stebz_splitting_kernelIdPdEEv15rocblas_erange_iT_S4_iiT0_iiS5_iiPiPS4_lS6_lS6_S7_S7_S7_S7_S6_S4_S4_,comdat
	.globl	_ZN9rocsolver6v33100L22stebz_splitting_kernelIdPdEEv15rocblas_erange_iT_S4_iiT0_iiS5_iiPiPS4_lS6_lS6_S7_S7_S7_S7_S6_S4_S4_ ; -- Begin function _ZN9rocsolver6v33100L22stebz_splitting_kernelIdPdEEv15rocblas_erange_iT_S4_iiT0_iiS5_iiPiPS4_lS6_lS6_S7_S7_S7_S7_S6_S4_S4_
	.p2align	8
	.type	_ZN9rocsolver6v33100L22stebz_splitting_kernelIdPdEEv15rocblas_erange_iT_S4_iiT0_iiS5_iiPiPS4_lS6_lS6_S7_S7_S7_S7_S6_S4_S4_,@function
_ZN9rocsolver6v33100L22stebz_splitting_kernelIdPdEEv15rocblas_erange_iT_S4_iiT0_iiS5_iiPiPS4_lS6_lS6_S7_S7_S7_S7_S6_S4_S4_: ; @_ZN9rocsolver6v33100L22stebz_splitting_kernelIdPdEEv15rocblas_erange_iT_S4_iiT0_iiS5_iiPiPS4_lS6_lS6_S7_S7_S7_S7_S6_S4_S4_
; %bb.0:
	s_load_dwordx2 s[34:35], s[4:5], 0x0
	s_mov_b32 s40, s7
	v_mov_b32_e32 v3, 0
	v_add_u32_e32 v22, -1, v0
	s_waitcnt lgkmcnt(0)
	s_add_i32 s33, s35, -1
	s_ashr_i32 s0, s33, 31
	s_lshr_b32 s0, s0, 24
	s_add_i32 s0, s33, s0
	s_ashr_i32 s1, s0, 8
	s_and_b32 s0, s0, 0xffffff00
	s_sub_i32 s0, s33, s0
	v_mov_b32_e32 v1, s1
	v_cmp_gt_i32_e32 vcc, s0, v0
	v_addc_co_u32_e32 v23, vcc, 0, v1, vcc
	v_lshlrev_b32_e32 v1, 2, v0
	v_cmp_eq_u32_e64 s[0:1], 0, v0
	v_cmp_ne_u32_e32 vcc, 0, v0
	ds_write_b32 v1, v23 offset:2048
	s_waitcnt lgkmcnt(0)
	s_barrier
	s_and_saveexec_b64 s[6:7], vcc
	s_cbranch_execz .LBB16_10
; %bb.1:
	v_cmp_lt_u32_e64 s[2:3], 6, v22
	v_mov_b32_e32 v3, 0
	v_mov_b32_e32 v2, 0
	s_and_saveexec_b64 s[8:9], s[2:3]
	s_cbranch_execz .LBB16_5
; %bb.2:
	v_and_b32_e32 v2, 0xf8, v0
	s_mov_b32 s12, 0
	s_movk_i32 s13, 0x800
	s_mov_b64 s[10:11], 0
	v_mov_b32_e32 v3, 0
.LBB16_3:                               ; =>This Inner Loop Header: Depth=1
	v_mov_b32_e32 v8, s13
	ds_read_b128 v[4:7], v8
	ds_read_b128 v[8:11], v8 offset:16
	s_add_i32 s12, s12, 8
	s_add_i32 s13, s13, 32
	v_cmp_eq_u32_e64 s[2:3], s12, v2
	s_waitcnt lgkmcnt(1)
	v_add_u32_e32 v3, v4, v3
	v_add_u32_e32 v3, v5, v3
	;; [unrolled: 1-line block ×4, first 2 shown]
	s_waitcnt lgkmcnt(0)
	v_add_u32_e32 v3, v8, v3
	v_add_u32_e32 v3, v9, v3
	;; [unrolled: 1-line block ×3, first 2 shown]
	s_or_b64 s[10:11], s[2:3], s[10:11]
	v_add_u32_e32 v3, v11, v3
	s_andn2_b64 exec, exec, s[10:11]
	s_cbranch_execnz .LBB16_3
; %bb.4:
	s_or_b64 exec, exec, s[10:11]
.LBB16_5:
	s_or_b64 exec, exec, s[8:9]
	v_and_b32_e32 v4, 7, v0
	v_cmp_ne_u32_e64 s[2:3], 0, v4
	s_and_saveexec_b64 s[8:9], s[2:3]
	s_cbranch_execz .LBB16_9
; %bb.6:
	v_mov_b32_e32 v5, 0x800
	v_lshl_or_b32 v2, v2, 2, v5
	s_mov_b64 s[10:11], 0
.LBB16_7:                               ; =>This Inner Loop Header: Depth=1
	ds_read_b32 v5, v2
	v_add_u32_e32 v4, -1, v4
	v_cmp_eq_u32_e64 s[2:3], 0, v4
	v_add_u32_e32 v2, 4, v2
	s_or_b64 s[10:11], s[2:3], s[10:11]
	s_waitcnt lgkmcnt(0)
	v_add_u32_e32 v3, v5, v3
	s_andn2_b64 exec, exec, s[10:11]
	s_cbranch_execnz .LBB16_7
; %bb.8:
	s_or_b64 exec, exec, s[10:11]
.LBB16_9:
	s_or_b64 exec, exec, s[8:9]
.LBB16_10:
	s_or_b64 exec, exec, s[6:7]
	s_load_dwordx4 s[36:39], s[4:5], 0x20
	s_load_dwordx16 s[8:23], s[4:5], 0x40
	s_load_dwordx2 s[46:47], s[4:5], 0xa0
	s_load_dwordx8 s[24:31], s[4:5], 0x80
	s_mul_i32 s2, s35, s40
	s_waitcnt lgkmcnt(0)
	s_ashr_i32 s43, s38, 31
	s_mov_b32 s42, s38
	s_mul_i32 s38, s33, s40
	s_ashr_i32 s3, s2, 31
	s_ashr_i32 s41, s40, 31
	s_mul_hi_i32 s45, s39, s40
	s_mul_i32 s44, s39, s40
	s_ashr_i32 s39, s38, 31
	s_lshl_b64 s[2:3], s[2:3], 2
	v_ashrrev_i32_e32 v4, 31, v3
	v_or_b32_e32 v21, 0x800, v1
	s_add_u32 s2, s18, s2
	v_lshlrev_b64 v[1:2], 2, v[3:4]
	s_addc_u32 s3, s19, s3
	s_mul_hi_u32 s6, s12, s40
	s_mul_i32 s7, s12, s41
	v_mov_b32_e32 v5, s3
	v_add_co_u32_e64 v1, s[2:3], s2, v1
	s_add_i32 s6, s6, s7
	s_mul_i32 s7, s13, s40
	v_addc_co_u32_e64 v2, s[2:3], v5, v2, s[2:3]
	s_add_i32 s13, s6, s7
	s_mul_i32 s12, s12, s40
	v_mov_b32_e32 v5, 0
	v_cmp_lt_i32_e64 s[2:3], 0, v23
	s_and_saveexec_b64 s[6:7], s[2:3]
	s_cbranch_execz .LBB16_16
; %bb.11:
	s_load_dwordx4 s[48:51], s[4:5], 0x30
	v_lshlrev_b64 v[4:5], 3, v[3:4]
	v_mov_b32_e32 v15, s46
	v_mov_b32_e32 v16, s47
	s_waitcnt lgkmcnt(0)
	s_ashr_i32 s3, s50, 31
	s_mov_b32 s2, s50
	s_mul_hi_i32 s19, s40, s51
	s_mul_i32 s18, s40, s51
	s_lshl_b64 s[18:19], s[18:19], 3
	s_lshl_b64 s[2:3], s[2:3], 3
	s_add_u32 s2, s18, s2
	s_addc_u32 s3, s19, s3
	s_add_u32 s2, s48, s2
	s_addc_u32 s3, s49, s3
	v_mov_b32_e32 v6, s3
	v_add_co_u32_e64 v7, s[2:3], s2, v4
	v_addc_co_u32_e64 v8, s[2:3], v6, v5, s[2:3]
	s_lshl_b64 s[2:3], s[44:45], 3
	s_lshl_b64 s[18:19], s[42:43], 3
	s_add_u32 s2, s2, s18
	s_addc_u32 s3, s3, s19
	s_add_u32 s2, s36, s2
	s_addc_u32 s3, s37, s3
	v_mov_b32_e32 v6, s3
	v_add_co_u32_e64 v9, s[2:3], s2, v4
	v_addc_co_u32_e64 v10, s[2:3], v6, v5, s[2:3]
	s_lshl_b64 s[2:3], s[38:39], 3
	s_add_u32 s2, s22, s2
	s_addc_u32 s3, s23, s3
	v_mov_b32_e32 v6, s3
	v_add_co_u32_e64 v11, s[2:3], s2, v4
	v_addc_co_u32_e64 v12, s[2:3], v6, v5, s[2:3]
	s_lshl_b64 s[2:3], s[12:13], 3
	s_add_u32 s2, s10, s2
	s_addc_u32 s3, s11, s3
	v_mov_b32_e32 v6, s3
	v_add_co_u32_e64 v13, s[2:3], s2, v4
	v_addc_co_u32_e64 v14, s[2:3], v6, v5, s[2:3]
	v_mov_b32_e32 v5, 0
	s_mov_b64 s[18:19], 0
	s_branch .LBB16_13
.LBB16_12:                              ;   in Loop: Header=BB16_13 Depth=1
	s_or_b64 exec, exec, s[48:49]
	v_add_co_u32_e64 v7, s[2:3], 8, v7
	v_addc_co_u32_e64 v8, s[2:3], 0, v8, s[2:3]
	v_add_co_u32_e64 v9, s[2:3], 8, v9
	v_addc_co_u32_e64 v10, s[2:3], 0, v10, s[2:3]
	global_store_dwordx2 v[11:12], v[19:20], off
	global_store_dwordx2 v[13:14], v[17:18], off
	v_add_co_u32_e64 v11, s[2:3], 8, v11
	v_add_u32_e32 v23, -1, v23
	v_addc_co_u32_e64 v12, s[2:3], 0, v12, s[2:3]
	v_cmp_eq_u32_e64 s[2:3], 0, v23
	s_or_b64 s[18:19], s[2:3], s[18:19]
	v_add_co_u32_e64 v13, s[2:3], 8, v13
	v_add_u32_e32 v3, 1, v3
	v_addc_co_u32_e64 v14, s[2:3], 0, v14, s[2:3]
	s_andn2_b64 exec, exec, s[18:19]
	s_cbranch_execz .LBB16_15
.LBB16_13:                              ; =>This Inner Loop Header: Depth=1
	global_load_dwordx4 v[24:27], v[9:10], off
	global_load_dwordx2 v[17:18], v[7:8], off
	s_waitcnt vmcnt(1)
	v_mul_f64 v[19:20], v[24:25], v[26:27]
	v_mul_f64 v[24:25], s[30:31], |v[19:20]|
	s_waitcnt vmcnt(0)
	v_mul_f64 v[19:20], v[17:18], v[17:18]
	v_fma_f64 v[24:25], s[30:31], v[24:25], v[15:16]
	v_cmp_gt_f64_e64 s[2:3], v[24:25], v[19:20]
	s_and_saveexec_b64 s[48:49], s[2:3]
	s_cbranch_execz .LBB16_12
; %bb.14:                               ;   in Loop: Header=BB16_13 Depth=1
	v_ashrrev_i32_e32 v6, 31, v5
	v_add_u32_e32 v24, 1, v5
	v_lshlrev_b64 v[4:5], 2, v[5:6]
	v_mov_b32_e32 v19, 0
	v_add_co_u32_e64 v4, s[2:3], v1, v4
	v_addc_co_u32_e64 v5, s[2:3], v2, v5, s[2:3]
	v_mov_b32_e32 v17, 0
	global_store_dword v[4:5], v3, off
	v_mov_b32_e32 v20, 0
	v_mov_b32_e32 v18, 0
	;; [unrolled: 1-line block ×3, first 2 shown]
	s_branch .LBB16_12
.LBB16_15:
	s_or_b64 exec, exec, s[18:19]
.LBB16_16:
	s_or_b64 exec, exec, s[6:7]
	v_mov_b32_e32 v3, 0
	ds_write_b32 v21, v5
	s_waitcnt vmcnt(0) lgkmcnt(0)
	s_barrier
	s_and_saveexec_b64 s[2:3], vcc
	s_cbranch_execz .LBB16_26
; %bb.17:
	v_cmp_lt_u32_e32 vcc, 6, v22
	v_mov_b32_e32 v3, 0
	v_mov_b32_e32 v4, 0
	s_and_saveexec_b64 s[6:7], vcc
	s_cbranch_execz .LBB16_21
; %bb.18:
	v_and_b32_e32 v4, 0xf8, v0
	s_mov_b32 s48, 0
	s_movk_i32 s49, 0x800
	s_mov_b64 s[18:19], 0
	v_mov_b32_e32 v3, 0
.LBB16_19:                              ; =>This Inner Loop Header: Depth=1
	v_mov_b32_e32 v10, s49
	ds_read_b128 v[6:9], v10
	ds_read_b128 v[10:13], v10 offset:16
	s_add_i32 s48, s48, 8
	s_add_i32 s49, s49, 32
	v_cmp_eq_u32_e32 vcc, s48, v4
	s_waitcnt lgkmcnt(1)
	v_add_u32_e32 v3, v6, v3
	v_add_u32_e32 v3, v7, v3
	;; [unrolled: 1-line block ×4, first 2 shown]
	s_waitcnt lgkmcnt(0)
	v_add_u32_e32 v3, v10, v3
	v_add_u32_e32 v3, v11, v3
	;; [unrolled: 1-line block ×3, first 2 shown]
	s_or_b64 s[18:19], vcc, s[18:19]
	v_add_u32_e32 v3, v13, v3
	s_andn2_b64 exec, exec, s[18:19]
	s_cbranch_execnz .LBB16_19
; %bb.20:
	s_or_b64 exec, exec, s[18:19]
.LBB16_21:
	s_or_b64 exec, exec, s[6:7]
	v_and_b32_e32 v6, 7, v0
	v_cmp_ne_u32_e32 vcc, 0, v6
	s_and_saveexec_b64 s[6:7], vcc
	s_cbranch_execz .LBB16_25
; %bb.22:
	v_mov_b32_e32 v7, 0x800
	v_lshl_or_b32 v4, v4, 2, v7
	s_mov_b64 s[18:19], 0
.LBB16_23:                              ; =>This Inner Loop Header: Depth=1
	ds_read_b32 v7, v4
	v_add_u32_e32 v6, -1, v6
	v_cmp_eq_u32_e32 vcc, 0, v6
	v_add_u32_e32 v4, 4, v4
	s_or_b64 s[18:19], vcc, s[18:19]
	s_waitcnt lgkmcnt(0)
	v_add_u32_e32 v3, v7, v3
	s_andn2_b64 exec, exec, s[18:19]
	s_cbranch_execnz .LBB16_23
; %bb.24:
	s_or_b64 exec, exec, s[18:19]
.LBB16_25:
	s_or_b64 exec, exec, s[6:7]
.LBB16_26:
	s_or_b64 exec, exec, s[2:3]
	s_mul_i32 s2, s16, s41
	s_mul_hi_u32 s3, s16, s40
	s_add_i32 s2, s3, s2
	s_mul_i32 s3, s17, s40
	s_add_i32 s7, s2, s3
	s_mul_i32 s6, s16, s40
	v_cmp_lt_i32_e32 vcc, 0, v5
	s_and_saveexec_b64 s[2:3], vcc
	s_cbranch_execz .LBB16_29
; %bb.27:
	s_lshl_b64 s[16:17], s[6:7], 2
	v_ashrrev_i32_e32 v4, 31, v3
	v_lshlrev_b64 v[6:7], 2, v[3:4]
	s_add_u32 s16, s14, s16
	s_addc_u32 s17, s15, s17
	v_mov_b32_e32 v4, s17
	v_add_co_u32_e32 v6, vcc, s16, v6
	v_addc_co_u32_e32 v7, vcc, v4, v7, vcc
	s_mov_b64 s[16:17], 0
	v_mov_b32_e32 v4, v5
.LBB16_28:                              ; =>This Inner Loop Header: Depth=1
	global_load_dword v8, v[1:2], off
	v_add_co_u32_e32 v1, vcc, 4, v1
	v_add_u32_e32 v4, -1, v4
	v_addc_co_u32_e32 v2, vcc, 0, v2, vcc
	v_cmp_eq_u32_e32 vcc, 0, v4
	s_or_b64 s[16:17], vcc, s[16:17]
	s_waitcnt vmcnt(0)
	v_add_u32_e32 v8, 1, v8
	global_store_dword v[6:7], v8, off
	v_add_co_u32_e32 v6, vcc, 4, v6
	v_addc_co_u32_e32 v7, vcc, 0, v7, vcc
	s_andn2_b64 exec, exec, s[16:17]
	s_cbranch_execnz .LBB16_28
.LBB16_29:
	s_or_b64 exec, exec, s[2:3]
	s_movk_i32 s2, 0xff
	v_cmp_eq_u32_e64 s[2:3], s2, v0
	s_and_saveexec_b64 s[16:17], s[2:3]
	s_cbranch_execz .LBB16_31
; %bb.30:
	s_lshl_b64 s[18:19], s[40:41], 2
	s_add_u32 s8, s8, s18
	v_add_u32_e32 v1, v3, v5
	s_addc_u32 s9, s9, s19
	s_lshl_b64 s[6:7], s[6:7], 2
	v_ashrrev_i32_e32 v2, 31, v1
	s_add_u32 s6, s14, s6
	v_lshlrev_b64 v[2:3], 2, v[1:2]
	s_addc_u32 s7, s15, s7
	v_mov_b32_e32 v5, s7
	v_add_co_u32_e32 v2, vcc, s6, v2
	v_addc_co_u32_e32 v3, vcc, v5, v3, vcc
	v_mov_b32_e32 v5, s35
	v_mov_b32_e32 v4, 0
	v_add_u32_e32 v1, 1, v1
	global_store_dword v[2:3], v5, off
	global_store_dword v4, v1, s[8:9]
.LBB16_31:
	s_or_b64 exec, exec, s[16:17]
	v_mov_b32_e32 v1, 0
	v_cmp_gt_i32_e32 vcc, s33, v0
	v_mov_b32_e32 v2, 0
	v_bfrev_b32_e32 v6, -2
	v_lshlrev_b32_e32 v5, 3, v0
	s_waitcnt vmcnt(0)
	s_barrier
	s_and_saveexec_b64 s[8:9], vcc
	s_cbranch_execz .LBB16_35
; %bb.32:
	s_lshl_b64 s[6:7], s[38:39], 3
	s_add_u32 s6, s22, s6
	s_addc_u32 s7, s23, s7
	v_mov_b32_e32 v1, s7
	v_add_co_u32_e32 v3, vcc, s6, v5
	v_addc_co_u32_e32 v4, vcc, 0, v1, vcc
	v_mov_b32_e32 v1, 0
	v_mov_b32_e32 v2, 0
	v_bfrev_b32_e32 v6, -2
	s_mov_b64 s[14:15], 0
	s_brev_b32 s16, -2
	v_mov_b32_e32 v7, v0
.LBB16_33:                              ; =>This Inner Loop Header: Depth=1
	global_load_dwordx2 v[8:9], v[3:4], off
	v_add_co_u32_e32 v3, vcc, 0x800, v3
	v_cmp_eq_u32_e64 s[6:7], s16, v6
	v_add_u32_e32 v10, 1, v7
	v_add_u32_e32 v7, 0x100, v7
	v_addc_co_u32_e32 v4, vcc, 0, v4, vcc
	v_cmp_le_i32_e32 vcc, s33, v7
	s_waitcnt vmcnt(0)
	v_cmp_lt_f64_e64 s[18:19], v[1:2], |v[8:9]|
	v_and_b32_e32 v9, 0x7fffffff, v9
	s_or_b64 s[6:7], s[18:19], s[6:7]
	v_cndmask_b32_e64 v2, v2, v9, s[6:7]
	v_cndmask_b32_e64 v1, v1, v8, s[6:7]
	s_or_b64 s[14:15], vcc, s[14:15]
	v_cndmask_b32_e64 v6, v6, v10, s[6:7]
	s_andn2_b64 exec, exec, s[14:15]
	s_cbranch_execnz .LBB16_33
; %bb.34:
	s_or_b64 exec, exec, s[14:15]
.LBB16_35:
	s_or_b64 exec, exec, s[8:9]
	s_cmp_lt_i32 s35, 3
	ds_write_b64 v5, v[1:2]
	ds_write_b32 v21, v6
	s_waitcnt lgkmcnt(0)
	s_barrier
	s_cbranch_scc1 .LBB16_70
; %bb.36:
	s_movk_i32 s6, 0x80
	v_cmp_gt_u32_e32 vcc, s6, v0
	s_and_saveexec_b64 s[8:9], vcc
	s_cbranch_execz .LBB16_42
; %bb.37:
	ds_read_b64 v[3:4], v5 offset:1024
	ds_read_b32 v7, v21 offset:512
	s_waitcnt lgkmcnt(1)
	v_cmp_lt_f64_e64 s[14:15], v[1:2], v[3:4]
	v_cmp_nlt_f64_e32 vcc, v[1:2], v[3:4]
	s_and_saveexec_b64 s[16:17], vcc
	s_cbranch_execz .LBB16_39
; %bb.38:
	v_cmp_eq_f64_e32 vcc, v[1:2], v[3:4]
	s_waitcnt lgkmcnt(0)
	v_cmp_gt_i32_e64 s[6:7], v6, v7
	s_andn2_b64 s[14:15], s[14:15], exec
	s_and_b64 s[6:7], vcc, s[6:7]
	s_and_b64 s[6:7], s[6:7], exec
	s_or_b64 s[14:15], s[14:15], s[6:7]
.LBB16_39:
	s_or_b64 exec, exec, s[16:17]
	s_and_saveexec_b64 s[6:7], s[14:15]
	s_cbranch_execz .LBB16_41
; %bb.40:
	v_mov_b32_e32 v1, v3
	s_waitcnt lgkmcnt(0)
	v_mov_b32_e32 v6, v7
	v_mov_b32_e32 v2, v4
	ds_write_b64 v5, v[3:4]
	ds_write_b32 v21, v7
.LBB16_41:
	s_or_b64 exec, exec, s[6:7]
.LBB16_42:
	s_or_b64 exec, exec, s[8:9]
	v_cmp_gt_u32_e32 vcc, 64, v0
	s_waitcnt lgkmcnt(0)
	s_barrier
	s_and_saveexec_b64 s[14:15], vcc
	s_cbranch_execz .LBB16_69
; %bb.43:
	ds_read_b64 v[3:4], v5 offset:512
	ds_read_b32 v7, v21 offset:256
	s_waitcnt lgkmcnt(1)
	v_cmp_lt_f64_e64 s[8:9], v[1:2], v[3:4]
	v_cmp_nlt_f64_e32 vcc, v[1:2], v[3:4]
	s_and_saveexec_b64 s[16:17], vcc
	s_cbranch_execz .LBB16_45
; %bb.44:
	v_cmp_eq_f64_e32 vcc, v[1:2], v[3:4]
	s_waitcnt lgkmcnt(0)
	v_cmp_gt_i32_e64 s[6:7], v6, v7
	s_andn2_b64 s[8:9], s[8:9], exec
	s_and_b64 s[6:7], vcc, s[6:7]
	s_and_b64 s[6:7], s[6:7], exec
	s_or_b64 s[8:9], s[8:9], s[6:7]
.LBB16_45:
	s_or_b64 exec, exec, s[16:17]
	s_and_saveexec_b64 s[6:7], s[8:9]
	s_cbranch_execz .LBB16_47
; %bb.46:
	v_mov_b32_e32 v1, v3
	v_mov_b32_e32 v2, v4
	s_waitcnt lgkmcnt(0)
	v_mov_b32_e32 v6, v7
	ds_write_b64 v5, v[3:4]
	ds_write_b32 v21, v7
.LBB16_47:
	s_or_b64 exec, exec, s[6:7]
	ds_read_b64 v[3:4], v5 offset:256
	s_waitcnt lgkmcnt(1)
	ds_read_b32 v7, v21 offset:128
	s_waitcnt lgkmcnt(1)
	v_cmp_lt_f64_e64 s[8:9], v[1:2], v[3:4]
	v_cmp_nlt_f64_e32 vcc, v[1:2], v[3:4]
	s_and_saveexec_b64 s[16:17], vcc
	s_cbranch_execz .LBB16_49
; %bb.48:
	v_cmp_eq_f64_e32 vcc, v[1:2], v[3:4]
	s_waitcnt lgkmcnt(0)
	v_cmp_gt_i32_e64 s[6:7], v6, v7
	s_andn2_b64 s[8:9], s[8:9], exec
	s_and_b64 s[6:7], vcc, s[6:7]
	s_and_b64 s[6:7], s[6:7], exec
	s_or_b64 s[8:9], s[8:9], s[6:7]
.LBB16_49:
	s_or_b64 exec, exec, s[16:17]
	s_and_saveexec_b64 s[6:7], s[8:9]
	s_cbranch_execz .LBB16_51
; %bb.50:
	v_mov_b32_e32 v1, v3
	v_mov_b32_e32 v2, v4
	s_waitcnt lgkmcnt(0)
	v_mov_b32_e32 v6, v7
	ds_write_b64 v5, v[3:4]
	ds_write_b32 v21, v7
.LBB16_51:
	s_or_b64 exec, exec, s[6:7]
	ds_read_b64 v[3:4], v5 offset:128
	s_waitcnt lgkmcnt(1)
	;; [unrolled: 29-line block ×6, first 2 shown]
	ds_read_b32 v7, v21 offset:4
	s_waitcnt lgkmcnt(1)
	v_cmp_eq_f64_e32 vcc, v[1:2], v[3:4]
	v_cmp_lt_f64_e64 s[6:7], v[1:2], v[3:4]
	s_waitcnt lgkmcnt(0)
	v_cmp_gt_i32_e64 s[8:9], v6, v7
	s_and_b64 s[8:9], vcc, s[8:9]
	s_or_b64 s[6:7], s[6:7], s[8:9]
	s_and_b64 exec, exec, s[6:7]
	s_cbranch_execz .LBB16_69
; %bb.68:
	ds_write_b64 v5, v[3:4]
	ds_write_b32 v21, v7
.LBB16_69:
	s_or_b64 exec, exec, s[14:15]
.LBB16_70:
	v_mov_b32_e32 v1, 0
	s_waitcnt lgkmcnt(0)
	s_barrier
	ds_read_b64 v[1:2], v1
	s_load_dwordx4 s[48:51], s[4:5], 0x8
	v_mov_b32_e32 v5, s47
	v_mov_b32_e32 v7, s46
	s_mov_b64 s[18:19], -1
	s_waitcnt lgkmcnt(0)
	v_mul_f64 v[1:2], s[46:47], v[1:2]
	v_mov_b32_e32 v3, s50
	s_cmpk_lg_i32 s34, 0xe9
	v_mov_b32_e32 v4, s51
	v_cmp_gt_f64_e32 vcc, s[46:47], v[1:2]
	v_cndmask_b32_e32 v6, v2, v5, vcc
	v_cndmask_b32_e32 v5, v1, v7, vcc
	v_mov_b32_e32 v1, s48
	v_mov_b32_e32 v2, s49
	s_cbranch_scc1 .LBB16_119
; %bb.71:
	s_lshl_b64 s[44:45], s[44:45], 3
	s_add_u32 s6, s36, s44
	s_addc_u32 s7, s37, s45
	s_lshl_b64 s[42:43], s[42:43], 3
	s_add_u32 s46, s6, s42
	s_addc_u32 s47, s7, s43
	;; [unrolled: 3-line block ×4, first 2 shown]
	s_lshl_b32 s10, s35, 1
	s_mul_i32 s6, s10, s40
	s_ashr_i32 s7, s6, 31
	s_lshl_b64 s[16:17], s[6:7], 3
	s_add_u32 s8, s26, s16
	s_addc_u32 s9, s27, s17
	s_lshl_b64 s[12:13], s[6:7], 2
	s_add_u32 s14, s28, s12
	s_addc_u32 s15, s29, s13
	s_and_saveexec_b64 s[38:39], s[0:1]
	s_cbranch_execz .LBB16_79
; %bb.72:
	v_mov_b32_e32 v12, 0
	global_load_dwordx2 v[8:9], v12, s[46:47]
	global_load_dwordx2 v[3:4], v12, s[22:23]
	s_cmp_gt_i32 s35, 1
	s_cselect_b64 s[48:49], -1, 0
	s_cmp_lt_i32 s35, 2
	s_waitcnt vmcnt(0)
	v_add_f64 v[1:2], v[8:9], -|v[3:4]|
	v_and_b32_e32 v4, 0x7fffffff, v4
	v_add_f64 v[10:11], v[8:9], -v[1:2]
	v_cmp_le_f64_e32 vcc, v[10:11], v[5:6]
	v_cndmask_b32_e64 v7, 0, 1, vcc
	s_cbranch_scc1 .LBB16_75
; %bb.73:
	v_cmp_gt_f64_e64 s[6:7], v[10:11], -v[5:6]
	v_xor_b32_e32 v13, 0x80000000, v6
	s_mov_b64 s[50:51], s[18:19]
	s_mov_b32 s11, s33
	s_and_b64 vcc, vcc, s[6:7]
	s_add_u32 s6, s44, s42
	s_addc_u32 s7, s45, s43
	s_add_u32 s6, s36, s6
	s_addc_u32 s7, s37, s7
	s_add_u32 s52, s6, 8
	v_cndmask_b32_e32 v11, v11, v13, vcc
	v_cndmask_b32_e32 v10, v10, v5, vcc
	s_addc_u32 s53, s7, 0
.LBB16_74:                              ; =>This Inner Loop Header: Depth=1
	global_load_dwordx2 v[14:15], v12, s[50:51]
	global_load_dwordx2 v[16:17], v12, s[52:53]
	s_add_i32 s11, s11, -1
	s_waitcnt vmcnt(1)
	v_div_scale_f64 v[18:19], s[6:7], v[10:11], v[10:11], v[14:15]
	s_waitcnt vmcnt(0)
	v_add_f64 v[16:17], v[16:17], -v[1:2]
	v_rcp_f64_e32 v[20:21], v[18:19]
	v_fma_f64 v[22:23], -v[18:19], v[20:21], 1.0
	v_fma_f64 v[20:21], v[20:21], v[22:23], v[20:21]
	v_div_scale_f64 v[22:23], vcc, v[14:15], v[10:11], v[14:15]
	v_fma_f64 v[24:25], -v[18:19], v[20:21], 1.0
	v_fma_f64 v[20:21], v[20:21], v[24:25], v[20:21]
	v_mul_f64 v[24:25], v[22:23], v[20:21]
	v_fma_f64 v[18:19], -v[18:19], v[24:25], v[22:23]
	v_div_fmas_f64 v[18:19], v[18:19], v[20:21], v[24:25]
	v_div_fixup_f64 v[10:11], v[18:19], v[10:11], v[14:15]
	v_add_f64 v[10:11], v[16:17], -v[10:11]
	v_cmp_le_f64_e32 vcc, v[10:11], v[5:6]
	v_cmp_gt_f64_e64 s[54:55], v[10:11], -v[5:6]
	v_addc_co_u32_e64 v7, s[6:7], 0, v7, vcc
	s_and_b64 vcc, vcc, s[54:55]
	s_add_u32 s52, s52, 8
	s_addc_u32 s53, s53, 0
	s_add_u32 s50, s50, 8
	s_addc_u32 s51, s51, 0
	v_cndmask_b32_e32 v11, v11, v13, vcc
	s_cmp_lg_u32 s11, 0
	v_cndmask_b32_e32 v10, v10, v5, vcc
	s_cbranch_scc1 .LBB16_74
.LBB16_75:
	v_add_f64 v[3:4], v[8:9], v[3:4]
	s_andn2_b64 vcc, exec, s[48:49]
	v_add_f64 v[9:10], v[8:9], -v[3:4]
	v_cmp_le_f64_e64 s[6:7], v[9:10], v[5:6]
	v_cndmask_b32_e64 v8, 0, 1, s[6:7]
	s_cbranch_vccnz .LBB16_78
; %bb.76:
	v_cmp_gt_f64_e64 s[50:51], v[9:10], -v[5:6]
	v_xor_b32_e32 v11, 0x80000000, v6
	v_mov_b32_e32 v12, 0
	s_mov_b64 s[48:49], s[18:19]
	s_mov_b32 s11, s33
	s_and_b64 vcc, s[6:7], s[50:51]
	s_add_u32 s6, s44, s42
	s_addc_u32 s7, s45, s43
	s_add_u32 s6, s36, s6
	s_addc_u32 s7, s37, s7
	s_add_u32 s50, s6, 8
	v_cndmask_b32_e32 v10, v10, v11, vcc
	v_cndmask_b32_e32 v9, v9, v5, vcc
	s_addc_u32 s51, s7, 0
.LBB16_77:                              ; =>This Inner Loop Header: Depth=1
	global_load_dwordx2 v[13:14], v12, s[48:49]
	global_load_dwordx2 v[15:16], v12, s[50:51]
	s_add_i32 s11, s11, -1
	s_waitcnt vmcnt(1)
	v_div_scale_f64 v[17:18], s[6:7], v[9:10], v[9:10], v[13:14]
	s_waitcnt vmcnt(0)
	v_add_f64 v[15:16], v[15:16], -v[3:4]
	v_rcp_f64_e32 v[19:20], v[17:18]
	v_fma_f64 v[21:22], -v[17:18], v[19:20], 1.0
	v_fma_f64 v[19:20], v[19:20], v[21:22], v[19:20]
	v_div_scale_f64 v[21:22], vcc, v[13:14], v[9:10], v[13:14]
	v_fma_f64 v[23:24], -v[17:18], v[19:20], 1.0
	v_fma_f64 v[19:20], v[19:20], v[23:24], v[19:20]
	v_mul_f64 v[23:24], v[21:22], v[19:20]
	v_fma_f64 v[17:18], -v[17:18], v[23:24], v[21:22]
	v_div_fmas_f64 v[17:18], v[17:18], v[19:20], v[23:24]
	v_div_fixup_f64 v[9:10], v[17:18], v[9:10], v[13:14]
	v_add_f64 v[9:10], v[15:16], -v[9:10]
	v_cmp_le_f64_e32 vcc, v[9:10], v[5:6]
	v_cmp_gt_f64_e64 s[52:53], v[9:10], -v[5:6]
	v_addc_co_u32_e64 v8, s[6:7], 0, v8, vcc
	s_and_b64 vcc, vcc, s[52:53]
	s_add_u32 s50, s50, 8
	s_addc_u32 s51, s51, 0
	s_add_u32 s48, s48, 8
	s_addc_u32 s49, s49, 0
	v_cndmask_b32_e32 v10, v10, v11, vcc
	s_cmp_lg_u32 s11, 0
	v_cndmask_b32_e32 v9, v9, v5, vcc
	s_cbranch_scc1 .LBB16_77
.LBB16_78:
	v_mov_b32_e32 v9, 0
	global_store_dwordx4 v9, v[1:4], s[8:9]
	global_store_dwordx2 v9, v[7:8], s[14:15]
.LBB16_79:
	s_or_b64 exec, exec, s[38:39]
	v_add_u32_e32 v7, 1, v0
	v_cmp_gt_i32_e32 vcc, s33, v7
	s_and_saveexec_b64 s[38:39], vcc
	s_cbranch_execz .LBB16_86
; %bb.80:
	s_add_u32 s6, s44, s42
	s_addc_u32 s7, s45, s43
	s_add_u32 s6, s36, s6
	s_addc_u32 s7, s37, s7
	;; [unrolled: 2-line block ×3, first 2 shown]
	s_mov_b64 s[50:51], 0
	v_mov_b32_e32 v8, 0
	v_mov_b32_e32 v4, s47
	;; [unrolled: 1-line block ×3, first 2 shown]
	v_xor_b32_e32 v17, 0x80000000, v6
.LBB16_81:                              ; =>This Loop Header: Depth=1
                                        ;     Child Loop BB16_82 Depth 2
                                        ;     Child Loop BB16_84 Depth 2
	v_lshlrev_b64 v[0:1], 3, v[7:8]
	s_mov_b32 s11, 1
	v_add_co_u32_e32 v2, vcc, s22, v0
	v_addc_co_u32_e32 v3, vcc, v16, v1, vcc
	global_load_dwordx4 v[12:15], v[2:3], off offset:-8
	v_add_co_u32_e32 v0, vcc, s46, v0
	v_addc_co_u32_e32 v1, vcc, v4, v1, vcc
	global_load_dwordx2 v[2:3], v[0:1], off
	global_load_dwordx2 v[10:11], v8, s[46:47]
	s_mov_b64 s[52:53], s[18:19]
	s_mov_b64 s[54:55], s[48:49]
	s_waitcnt vmcnt(2)
	v_add_f64 v[12:13], |v[14:15]|, |v[12:13]|
	s_waitcnt vmcnt(1)
	v_add_f64 v[0:1], v[2:3], -v[12:13]
	s_waitcnt vmcnt(0)
	v_add_f64 v[14:15], v[10:11], -v[0:1]
	v_cmp_le_f64_e32 vcc, v[14:15], v[5:6]
	v_cmp_gt_f64_e64 s[6:7], v[14:15], -v[5:6]
	v_cndmask_b32_e64 v9, 0, 1, vcc
	s_and_b64 vcc, vcc, s[6:7]
	v_cndmask_b32_e32 v15, v15, v17, vcc
	v_cndmask_b32_e32 v14, v14, v5, vcc
.LBB16_82:                              ;   Parent Loop BB16_81 Depth=1
                                        ; =>  This Inner Loop Header: Depth=2
	global_load_dwordx2 v[18:19], v8, s[52:53]
	global_load_dwordx2 v[20:21], v8, s[54:55]
	s_add_i32 s11, s11, 1
	s_waitcnt vmcnt(1)
	v_div_scale_f64 v[22:23], s[6:7], v[14:15], v[14:15], v[18:19]
	s_waitcnt vmcnt(0)
	v_add_f64 v[20:21], v[20:21], -v[0:1]
	v_rcp_f64_e32 v[24:25], v[22:23]
	v_fma_f64 v[26:27], -v[22:23], v[24:25], 1.0
	v_fma_f64 v[24:25], v[24:25], v[26:27], v[24:25]
	v_div_scale_f64 v[26:27], vcc, v[18:19], v[14:15], v[18:19]
	v_fma_f64 v[28:29], -v[22:23], v[24:25], 1.0
	v_fma_f64 v[24:25], v[24:25], v[28:29], v[24:25]
	v_mul_f64 v[28:29], v[26:27], v[24:25]
	v_fma_f64 v[22:23], -v[22:23], v[28:29], v[26:27]
	v_div_fmas_f64 v[22:23], v[22:23], v[24:25], v[28:29]
	v_div_fixup_f64 v[14:15], v[22:23], v[14:15], v[18:19]
	v_add_f64 v[14:15], v[20:21], -v[14:15]
	v_cmp_le_f64_e32 vcc, v[14:15], v[5:6]
	v_cmp_gt_f64_e64 s[56:57], v[14:15], -v[5:6]
	v_addc_co_u32_e64 v9, s[6:7], 0, v9, vcc
	s_and_b64 vcc, vcc, s[56:57]
	s_add_u32 s54, s54, 8
	s_addc_u32 s55, s55, 0
	s_add_u32 s52, s52, 8
	s_addc_u32 s53, s53, 0
	v_cndmask_b32_e32 v15, v15, v17, vcc
	s_cmp_lg_u32 s35, s11
	v_cndmask_b32_e32 v14, v14, v5, vcc
	s_cbranch_scc1 .LBB16_82
; %bb.83:                               ;   in Loop: Header=BB16_81 Depth=1
	v_add_f64 v[2:3], v[2:3], v[12:13]
	s_mov_b64 s[52:53], s[18:19]
	s_mov_b64 s[54:55], s[48:49]
	s_mov_b32 s11, s33
	v_add_f64 v[11:12], v[10:11], -v[2:3]
	v_cmp_le_f64_e32 vcc, v[11:12], v[5:6]
	v_cmp_gt_f64_e64 s[6:7], v[11:12], -v[5:6]
	v_cndmask_b32_e64 v10, 0, 1, vcc
	s_and_b64 vcc, vcc, s[6:7]
	v_cndmask_b32_e32 v12, v12, v17, vcc
	v_cndmask_b32_e32 v11, v11, v5, vcc
.LBB16_84:                              ;   Parent Loop BB16_81 Depth=1
                                        ; =>  This Inner Loop Header: Depth=2
	global_load_dwordx2 v[13:14], v8, s[52:53]
	global_load_dwordx2 v[18:19], v8, s[54:55]
	s_add_i32 s11, s11, -1
	s_waitcnt vmcnt(1)
	v_div_scale_f64 v[20:21], s[6:7], v[11:12], v[11:12], v[13:14]
	s_waitcnt vmcnt(0)
	v_add_f64 v[18:19], v[18:19], -v[2:3]
	v_rcp_f64_e32 v[22:23], v[20:21]
	v_fma_f64 v[24:25], -v[20:21], v[22:23], 1.0
	v_fma_f64 v[22:23], v[22:23], v[24:25], v[22:23]
	v_div_scale_f64 v[24:25], vcc, v[13:14], v[11:12], v[13:14]
	v_fma_f64 v[26:27], -v[20:21], v[22:23], 1.0
	v_fma_f64 v[22:23], v[22:23], v[26:27], v[22:23]
	v_mul_f64 v[26:27], v[24:25], v[22:23]
	v_fma_f64 v[20:21], -v[20:21], v[26:27], v[24:25]
	v_div_fmas_f64 v[20:21], v[20:21], v[22:23], v[26:27]
	v_div_fixup_f64 v[11:12], v[20:21], v[11:12], v[13:14]
	v_add_f64 v[11:12], v[18:19], -v[11:12]
	v_cmp_le_f64_e32 vcc, v[11:12], v[5:6]
	v_cmp_gt_f64_e64 s[56:57], v[11:12], -v[5:6]
	v_addc_co_u32_e64 v10, s[6:7], 0, v10, vcc
	s_and_b64 vcc, vcc, s[56:57]
	s_add_u32 s54, s54, 8
	s_addc_u32 s55, s55, 0
	s_add_u32 s52, s52, 8
	s_addc_u32 s53, s53, 0
	v_cndmask_b32_e32 v12, v12, v17, vcc
	s_cmp_lg_u32 s11, 0
	v_cndmask_b32_e32 v11, v11, v5, vcc
	s_cbranch_scc1 .LBB16_84
; %bb.85:                               ;   in Loop: Header=BB16_81 Depth=1
	v_lshlrev_b32_e32 v11, 1, v7
	v_mov_b32_e32 v12, v8
	v_lshlrev_b64 v[13:14], 3, v[11:12]
	v_mov_b32_e32 v15, s9
	v_add_co_u32_e32 v13, vcc, s8, v13
	v_lshlrev_b64 v[11:12], 2, v[11:12]
	v_addc_co_u32_e32 v14, vcc, v15, v14, vcc
	v_mov_b32_e32 v15, s15
	v_add_co_u32_e32 v11, vcc, s14, v11
	v_addc_co_u32_e32 v12, vcc, v15, v12, vcc
	v_add_u32_e32 v7, 0x100, v7
	v_cmp_le_i32_e32 vcc, s33, v7
	s_or_b64 s[50:51], vcc, s[50:51]
	global_store_dwordx4 v[13:14], v[0:3], off
	global_store_dwordx2 v[11:12], v[9:10], off
	s_andn2_b64 exec, exec, s[50:51]
	s_cbranch_execnz .LBB16_81
.LBB16_86:
	s_or_b64 exec, exec, s[38:39]
	s_and_saveexec_b64 s[6:7], s[2:3]
	s_cbranch_execz .LBB16_94
; %bb.87:
	s_ashr_i32 s3, s35, 31
	s_mov_b32 s2, s35
	s_lshl_b64 s[2:3], s[2:3], 3
	s_add_u32 s38, s46, s2
	s_addc_u32 s39, s47, s3
	v_mov_b32_e32 v4, 0
	s_add_u32 s2, s22, s2
	s_addc_u32 s3, s23, s3
	global_load_dwordx2 v[2:3], v4, s[38:39] offset:-8
	global_load_dwordx2 v[8:9], v4, s[2:3] offset:-16
	global_load_dwordx2 v[10:11], v4, s[46:47]
	s_cmp_gt_i32 s35, 1
	s_cselect_b64 s[22:23], -1, 0
	s_cmp_lt_i32 s35, 2
	s_waitcnt vmcnt(1)
	v_add_f64 v[0:1], v[2:3], -|v[8:9]|
	v_and_b32_e32 v9, 0x7fffffff, v9
	s_waitcnt vmcnt(0)
	v_add_f64 v[12:13], v[10:11], -v[0:1]
	v_cmp_le_f64_e32 vcc, v[12:13], v[5:6]
	v_cndmask_b32_e64 v7, 0, 1, vcc
	s_cbranch_scc1 .LBB16_90
; %bb.88:
	v_cmp_gt_f64_e64 s[2:3], v[12:13], -v[5:6]
	v_xor_b32_e32 v14, 0x80000000, v6
	s_mov_b64 s[38:39], s[18:19]
	s_mov_b32 s11, s33
	s_and_b64 vcc, vcc, s[2:3]
	s_add_u32 s2, s44, s42
	s_addc_u32 s3, s45, s43
	s_add_u32 s2, s36, s2
	s_addc_u32 s3, s37, s3
	s_add_u32 s46, s2, 8
	v_cndmask_b32_e32 v13, v13, v14, vcc
	v_cndmask_b32_e32 v12, v12, v5, vcc
	s_addc_u32 s47, s3, 0
.LBB16_89:                              ; =>This Inner Loop Header: Depth=1
	global_load_dwordx2 v[15:16], v4, s[38:39]
	global_load_dwordx2 v[17:18], v4, s[46:47]
	s_add_i32 s11, s11, -1
	s_waitcnt vmcnt(1)
	v_div_scale_f64 v[19:20], s[2:3], v[12:13], v[12:13], v[15:16]
	s_waitcnt vmcnt(0)
	v_add_f64 v[17:18], v[17:18], -v[0:1]
	v_rcp_f64_e32 v[21:22], v[19:20]
	v_fma_f64 v[23:24], -v[19:20], v[21:22], 1.0
	v_fma_f64 v[21:22], v[21:22], v[23:24], v[21:22]
	v_div_scale_f64 v[23:24], vcc, v[15:16], v[12:13], v[15:16]
	v_fma_f64 v[25:26], -v[19:20], v[21:22], 1.0
	v_fma_f64 v[21:22], v[21:22], v[25:26], v[21:22]
	v_mul_f64 v[25:26], v[23:24], v[21:22]
	v_fma_f64 v[19:20], -v[19:20], v[25:26], v[23:24]
	v_div_fmas_f64 v[19:20], v[19:20], v[21:22], v[25:26]
	v_div_fixup_f64 v[12:13], v[19:20], v[12:13], v[15:16]
	v_add_f64 v[12:13], v[17:18], -v[12:13]
	v_cmp_le_f64_e32 vcc, v[12:13], v[5:6]
	v_cmp_gt_f64_e64 s[48:49], v[12:13], -v[5:6]
	v_addc_co_u32_e64 v7, s[2:3], 0, v7, vcc
	s_and_b64 vcc, vcc, s[48:49]
	s_add_u32 s46, s46, 8
	s_addc_u32 s47, s47, 0
	s_add_u32 s38, s38, 8
	s_addc_u32 s39, s39, 0
	v_cndmask_b32_e32 v13, v13, v14, vcc
	s_cmp_lg_u32 s11, 0
	v_cndmask_b32_e32 v12, v12, v5, vcc
	s_cbranch_scc1 .LBB16_89
.LBB16_90:
	v_add_f64 v[2:3], v[2:3], v[8:9]
	s_andn2_b64 vcc, exec, s[22:23]
	v_add_f64 v[9:10], v[10:11], -v[2:3]
	v_cmp_le_f64_e64 s[2:3], v[9:10], v[5:6]
	v_cndmask_b32_e64 v8, 0, 1, s[2:3]
	s_cbranch_vccnz .LBB16_93
; %bb.91:
	v_cmp_gt_f64_e64 s[22:23], v[9:10], -v[5:6]
	v_xor_b32_e32 v4, 0x80000000, v6
	v_mov_b32_e32 v11, 0
	s_and_b64 vcc, s[2:3], s[22:23]
	s_add_u32 s2, s44, s42
	s_addc_u32 s3, s45, s43
	s_add_u32 s2, s36, s2
	s_addc_u32 s3, s37, s3
	s_add_u32 s22, s2, 8
	v_cndmask_b32_e32 v10, v10, v4, vcc
	v_cndmask_b32_e32 v9, v9, v5, vcc
	s_addc_u32 s23, s3, 0
.LBB16_92:                              ; =>This Inner Loop Header: Depth=1
	global_load_dwordx2 v[12:13], v11, s[18:19]
	global_load_dwordx2 v[14:15], v11, s[22:23]
	s_add_i32 s33, s33, -1
	s_waitcnt vmcnt(1)
	v_div_scale_f64 v[16:17], s[2:3], v[9:10], v[9:10], v[12:13]
	s_waitcnt vmcnt(0)
	v_add_f64 v[14:15], v[14:15], -v[2:3]
	v_rcp_f64_e32 v[18:19], v[16:17]
	v_fma_f64 v[20:21], -v[16:17], v[18:19], 1.0
	v_fma_f64 v[18:19], v[18:19], v[20:21], v[18:19]
	v_div_scale_f64 v[20:21], vcc, v[12:13], v[9:10], v[12:13]
	v_fma_f64 v[22:23], -v[16:17], v[18:19], 1.0
	v_fma_f64 v[18:19], v[18:19], v[22:23], v[18:19]
	v_mul_f64 v[22:23], v[20:21], v[18:19]
	v_fma_f64 v[16:17], -v[16:17], v[22:23], v[20:21]
	v_div_fmas_f64 v[16:17], v[16:17], v[18:19], v[22:23]
	v_div_fixup_f64 v[9:10], v[16:17], v[9:10], v[12:13]
	v_add_f64 v[9:10], v[14:15], -v[9:10]
	v_cmp_le_f64_e32 vcc, v[9:10], v[5:6]
	v_cmp_gt_f64_e64 s[36:37], v[9:10], -v[5:6]
	v_addc_co_u32_e64 v8, s[2:3], 0, v8, vcc
	s_and_b64 vcc, vcc, s[36:37]
	s_add_u32 s22, s22, 8
	s_addc_u32 s23, s23, 0
	s_add_u32 s18, s18, 8
	s_addc_u32 s19, s19, 0
	v_cndmask_b32_e32 v10, v10, v4, vcc
	s_cmp_lg_u32 s33, 0
	v_cndmask_b32_e32 v9, v9, v5, vcc
	s_cbranch_scc1 .LBB16_92
.LBB16_93:
	s_ashr_i32 s11, s10, 31
	s_lshl_b64 s[2:3], s[10:11], 3
	s_add_u32 s2, s8, s2
	s_addc_u32 s3, s9, s3
	s_lshl_b64 s[18:19], s[10:11], 2
	v_mov_b32_e32 v4, 0
	s_add_u32 s18, s14, s18
	s_addc_u32 s19, s15, s19
	global_store_dwordx4 v4, v[0:3], s[2:3] offset:-16
	global_store_dwordx2 v4, v[7:8], s[18:19] offset:-8
.LBB16_94:
	s_or_b64 exec, exec, s[6:7]
	s_mov_b64 s[18:19], 0
	s_waitcnt vmcnt(0)
	s_barrier
                                        ; implicit-def: $vgpr3_vgpr4
                                        ; implicit-def: $vgpr1_vgpr2
	s_and_saveexec_b64 s[6:7], s[0:1]
	s_cbranch_execz .LBB16_118
; %bb.95:
	s_cmp_gt_i32 s35, 0
	s_cselect_b64 s[18:19], -1, 0
	s_cmp_lt_i32 s35, 1
	s_mov_b32 s22, 1
	s_cbranch_scc1 .LBB16_103
; %bb.96:
	s_cmp_lg_u64 s[28:29], 0
	s_cselect_b64 s[2:3], -1, 0
	s_add_u32 s11, s26, s16
	s_addc_u32 s17, s27, s17
	s_add_u32 s16, s11, 8
	v_cndmask_b32_e64 v0, 0, 1, s[2:3]
	s_addc_u32 s17, s17, 0
	v_mov_b32_e32 v4, 0
	v_cmp_ne_u32_e64 s[2:3], 1, v0
	s_branch .LBB16_98
.LBB16_97:                              ;   in Loop: Header=BB16_98 Depth=1
	s_add_i32 s22, s22, 1
	s_add_u32 s16, s16, 8
	s_addc_u32 s17, s17, 0
	s_cmp_lg_u32 s22, s10
	s_cbranch_scc0 .LBB16_103
.LBB16_98:                              ; =>This Loop Header: Depth=1
                                        ;     Child Loop BB16_99 Depth 2
	s_ashr_i32 s23, s22, 31
	s_add_i32 s11, s22, -1
	s_lshl_b64 s[26:27], s[22:23], 3
	s_add_u32 s36, s8, s26
	s_addc_u32 s37, s9, s27
	global_load_dwordx2 v[0:1], v4, s[36:37] offset:-8
	s_mov_b64 s[38:39], s[16:17]
	s_mov_b32 s27, s22
	s_mov_b32 s26, s11
	s_waitcnt vmcnt(0)
	v_mov_b32_e32 v3, v1
	v_mov_b32_e32 v2, v0
.LBB16_99:                              ;   Parent Loop BB16_98 Depth=1
                                        ; =>  This Inner Loop Header: Depth=2
	global_load_dwordx2 v[7:8], v4, s[38:39]
	s_waitcnt vmcnt(0)
	v_cmp_lt_f64_e32 vcc, v[7:8], v[2:3]
	s_and_b64 s[42:43], vcc, exec
	s_cselect_b32 s26, s27, s26
	s_add_i32 s27, s27, 1
	s_add_u32 s38, s38, 8
	s_addc_u32 s39, s39, 0
	v_cndmask_b32_e32 v3, v3, v8, vcc
	s_cmp_eq_u32 s10, s27
	v_cndmask_b32_e32 v2, v2, v7, vcc
	s_cbranch_scc0 .LBB16_99
; %bb.100:                              ;   in Loop: Header=BB16_98 Depth=1
	s_cmp_lg_u32 s26, s11
	s_cbranch_scc0 .LBB16_97
; %bb.101:                              ;   in Loop: Header=BB16_98 Depth=1
	s_ashr_i32 s27, s26, 31
	s_lshl_b64 s[38:39], s[26:27], 3
	s_add_u32 s38, s8, s38
	s_addc_u32 s39, s9, s39
	s_and_b64 vcc, exec, s[2:3]
	global_store_dwordx2 v4, v[0:1], s[38:39]
	global_store_dwordx2 v4, v[2:3], s[36:37] offset:-8
	s_cbranch_vccnz .LBB16_97
; %bb.102:                              ;   in Loop: Header=BB16_98 Depth=1
	s_lshl_b64 s[36:37], s[22:23], 2
	s_add_u32 s36, s14, s36
	s_addc_u32 s37, s15, s37
	s_lshl_b64 s[26:27], s[26:27], 2
	s_add_u32 s26, s14, s26
	s_addc_u32 s27, s15, s27
	global_load_dword v0, v4, s[36:37] offset:-4
	global_load_dword v1, v4, s[26:27]
	s_waitcnt vmcnt(1)
	global_store_dword v4, v0, s[26:27]
	s_waitcnt vmcnt(1)
	global_store_dword v4, v1, s[36:37] offset:-4
	s_branch .LBB16_97
.LBB16_103:
	s_ashr_i32 s11, s10, 31
	s_lshl_b64 s[2:3], s[10:11], 3
	v_mov_b32_e32 v0, 0
	s_add_u32 s14, s8, s2
	s_addc_u32 s15, s9, s3
	global_load_dwordx2 v[1:2], v0, s[8:9]
	global_load_dwordx2 v[3:4], v0, s[14:15] offset:-8
	v_cvt_f64_i32_e32 v[9:10], s35
	s_load_dwordx2 s[4:5], s[4:5], 0x18
	s_waitcnt vmcnt(0)
	v_cmp_lt_f64_e64 vcc, |v[1:2]|, |v[3:4]|
	v_cndmask_b32_e32 v8, v2, v4, vcc
	v_cndmask_b32_e32 v7, v1, v3, vcc
	v_mul_f64 v[7:8], s[30:31], |v[7:8]|
	s_andn2_b64 vcc, exec, s[18:19]
	v_fma_f64 v[1:2], -v[7:8], v[9:10], v[1:2]
	v_fma_f64 v[3:4], v[7:8], v[9:10], v[3:4]
	v_cndmask_b32_e64 v7, 0, 1, s[18:19]
	v_cmp_ne_u32_e64 s[2:3], 1, v7
	v_add_f64 v[1:2], v[1:2], -v[5:6]
	v_add_f64 v[3:4], v[5:6], v[3:4]
	global_store_dwordx2 v0, v[1:2], s[8:9]
	global_store_dwordx2 v0, v[3:4], s[14:15] offset:-8
	s_cbranch_vccnz .LBB16_109
; %bb.104:
	s_max_i32 s11, s10, 2
	s_add_i32 s11, s11, -1
	s_add_u32 s14, s28, s12
	s_addc_u32 s15, s29, s13
	s_add_u32 s14, s14, 4
	s_addc_u32 s15, s15, 0
	s_mov_b32 s17, 0
	s_branch .LBB16_106
.LBB16_105:                             ;   in Loop: Header=BB16_106 Depth=1
	s_add_i32 s17, s17, 1
	s_add_u32 s14, s14, 4
	s_addc_u32 s15, s15, 0
	s_cmp_eq_u32 s11, s17
	s_cselect_b64 s[18:19], -1, 0
	s_mov_b32 s16, s11
	s_andn2_b64 vcc, exec, s[18:19]
	s_cbranch_vccz .LBB16_108
.LBB16_106:                             ; =>This Inner Loop Header: Depth=1
	global_load_dword v1, v0, s[14:15]
	s_mov_b64 s[18:19], -1
	s_waitcnt vmcnt(0) lgkmcnt(0)
	v_cmp_le_i32_e32 vcc, s4, v1
	s_cbranch_vccz .LBB16_105
; %bb.107:                              ;   in Loop: Header=BB16_106 Depth=1
                                        ; implicit-def: $sgpr14_sgpr15
	s_mov_b32 s16, s17
	s_andn2_b64 vcc, exec, s[18:19]
	s_cbranch_vccnz .LBB16_106
.LBB16_108:
	s_mov_b32 s17, 0
	s_branch .LBB16_110
.LBB16_109:
	s_mov_b64 s[16:17], 0
.LBB16_110:
	s_lshl_b64 s[14:15], s[16:17], 3
	s_add_u32 s14, s8, s14
	s_addc_u32 s15, s9, s15
	v_mov_b32_e32 v0, 0
	global_load_dwordx2 v[1:2], v0, s[14:15]
	s_and_b64 vcc, exec, s[2:3]
	s_mov_b32 s14, 1
	s_cbranch_vccnz .LBB16_116
; %bb.111:
	s_max_i32 s15, s10, 2
	s_add_i32 s16, s15, -1
	s_add_u32 s2, s28, s12
	s_addc_u32 s3, s29, s13
	s_add_u32 s2, s2, 4
	s_addc_u32 s3, s3, 0
	s_branch .LBB16_113
.LBB16_112:                             ;   in Loop: Header=BB16_113 Depth=1
	s_mov_b32 s4, s14
                                        ; implicit-def: $sgpr2_sgpr3
	s_andn2_b64 vcc, exec, s[10:11]
	s_cbranch_vccz .LBB16_115
.LBB16_113:                             ; =>This Inner Loop Header: Depth=1
	global_load_dword v3, v0, s[2:3]
	s_mov_b64 s[10:11], -1
	s_waitcnt vmcnt(0) lgkmcnt(0)
	v_cmp_gt_i32_e32 vcc, s5, v3
	s_cbranch_vccz .LBB16_112
; %bb.114:                              ;   in Loop: Header=BB16_113 Depth=1
	s_add_i32 s14, s14, 1
	s_add_u32 s2, s2, 4
	s_addc_u32 s3, s3, 0
	s_cmp_eq_u32 s15, s14
	s_cselect_b64 s[10:11], -1, 0
	s_mov_b32 s4, s16
	s_andn2_b64 vcc, exec, s[10:11]
	s_cbranch_vccnz .LBB16_113
.LBB16_115:
	s_ashr_i32 s5, s4, 31
	s_branch .LBB16_117
.LBB16_116:
	s_waitcnt lgkmcnt(0)
	s_mov_b64 s[4:5], 0
.LBB16_117:
	s_lshl_b64 s[2:3], s[4:5], 3
	s_add_u32 s2, s8, s2
	s_addc_u32 s3, s9, s3
	v_mov_b32_e32 v0, 0
	global_load_dwordx2 v[3:4], v0, s[2:3]
	s_mov_b64 s[18:19], exec
.LBB16_118:
	s_or_b64 exec, exec, s[6:7]
.LBB16_119:
	s_and_saveexec_b64 s[2:3], s[18:19]
	s_cbranch_execz .LBB16_122
; %bb.120:
	s_and_b64 exec, exec, s[0:1]
	s_cbranch_execz .LBB16_122
; %bb.121:
	s_lshl_b64 s[0:1], s[40:41], 3
	s_add_u32 s0, s20, s0
	s_addc_u32 s1, s21, s1
	s_lshl_b32 s2, s40, 1
	s_ashr_i32 s3, s2, 31
	s_lshl_b64 s[2:3], s[2:3], 3
	s_add_u32 s2, s24, s2
	s_addc_u32 s3, s25, s3
	s_cmpk_eq_i32 s34, 0xe7
	v_mov_b32_e32 v0, 0
	s_cselect_b64 s[4:5], -1, 0
	s_waitcnt vmcnt(0)
	v_cndmask_b32_e64 v4, v4, 0, s[4:5]
	v_cndmask_b32_e64 v3, v3, 0, s[4:5]
	;; [unrolled: 1-line block ×4, first 2 shown]
	global_store_dwordx2 v0, v[5:6], s[0:1]
	global_store_dwordx4 v0, v[1:4], s[2:3]
.LBB16_122:
	s_endpgm
	.section	.rodata,"a",@progbits
	.p2align	6, 0x0
	.amdhsa_kernel _ZN9rocsolver6v33100L22stebz_splitting_kernelIdPdEEv15rocblas_erange_iT_S4_iiT0_iiS5_iiPiPS4_lS6_lS6_S7_S7_S7_S7_S6_S4_S4_
		.amdhsa_group_segment_fixed_size 3072
		.amdhsa_private_segment_fixed_size 0
		.amdhsa_kernarg_size 168
		.amdhsa_user_sgpr_count 6
		.amdhsa_user_sgpr_private_segment_buffer 1
		.amdhsa_user_sgpr_dispatch_ptr 0
		.amdhsa_user_sgpr_queue_ptr 0
		.amdhsa_user_sgpr_kernarg_segment_ptr 1
		.amdhsa_user_sgpr_dispatch_id 0
		.amdhsa_user_sgpr_flat_scratch_init 0
		.amdhsa_user_sgpr_private_segment_size 0
		.amdhsa_uses_dynamic_stack 0
		.amdhsa_system_sgpr_private_segment_wavefront_offset 0
		.amdhsa_system_sgpr_workgroup_id_x 1
		.amdhsa_system_sgpr_workgroup_id_y 1
		.amdhsa_system_sgpr_workgroup_id_z 0
		.amdhsa_system_sgpr_workgroup_info 0
		.amdhsa_system_vgpr_workitem_id 0
		.amdhsa_next_free_vgpr 30
		.amdhsa_next_free_sgpr 58
		.amdhsa_reserve_vcc 1
		.amdhsa_reserve_flat_scratch 0
		.amdhsa_float_round_mode_32 0
		.amdhsa_float_round_mode_16_64 0
		.amdhsa_float_denorm_mode_32 3
		.amdhsa_float_denorm_mode_16_64 3
		.amdhsa_dx10_clamp 1
		.amdhsa_ieee_mode 1
		.amdhsa_fp16_overflow 0
		.amdhsa_exception_fp_ieee_invalid_op 0
		.amdhsa_exception_fp_denorm_src 0
		.amdhsa_exception_fp_ieee_div_zero 0
		.amdhsa_exception_fp_ieee_overflow 0
		.amdhsa_exception_fp_ieee_underflow 0
		.amdhsa_exception_fp_ieee_inexact 0
		.amdhsa_exception_int_div_zero 0
	.end_amdhsa_kernel
	.section	.text._ZN9rocsolver6v33100L22stebz_splitting_kernelIdPdEEv15rocblas_erange_iT_S4_iiT0_iiS5_iiPiPS4_lS6_lS6_S7_S7_S7_S7_S6_S4_S4_,"axG",@progbits,_ZN9rocsolver6v33100L22stebz_splitting_kernelIdPdEEv15rocblas_erange_iT_S4_iiT0_iiS5_iiPiPS4_lS6_lS6_S7_S7_S7_S7_S6_S4_S4_,comdat
.Lfunc_end16:
	.size	_ZN9rocsolver6v33100L22stebz_splitting_kernelIdPdEEv15rocblas_erange_iT_S4_iiT0_iiS5_iiPiPS4_lS6_lS6_S7_S7_S7_S7_S6_S4_S4_, .Lfunc_end16-_ZN9rocsolver6v33100L22stebz_splitting_kernelIdPdEEv15rocblas_erange_iT_S4_iiT0_iiS5_iiPiPS4_lS6_lS6_S7_S7_S7_S7_S6_S4_S4_
                                        ; -- End function
	.set _ZN9rocsolver6v33100L22stebz_splitting_kernelIdPdEEv15rocblas_erange_iT_S4_iiT0_iiS5_iiPiPS4_lS6_lS6_S7_S7_S7_S7_S6_S4_S4_.num_vgpr, 30
	.set _ZN9rocsolver6v33100L22stebz_splitting_kernelIdPdEEv15rocblas_erange_iT_S4_iiT0_iiS5_iiPiPS4_lS6_lS6_S7_S7_S7_S7_S6_S4_S4_.num_agpr, 0
	.set _ZN9rocsolver6v33100L22stebz_splitting_kernelIdPdEEv15rocblas_erange_iT_S4_iiT0_iiS5_iiPiPS4_lS6_lS6_S7_S7_S7_S7_S6_S4_S4_.numbered_sgpr, 58
	.set _ZN9rocsolver6v33100L22stebz_splitting_kernelIdPdEEv15rocblas_erange_iT_S4_iiT0_iiS5_iiPiPS4_lS6_lS6_S7_S7_S7_S7_S6_S4_S4_.num_named_barrier, 0
	.set _ZN9rocsolver6v33100L22stebz_splitting_kernelIdPdEEv15rocblas_erange_iT_S4_iiT0_iiS5_iiPiPS4_lS6_lS6_S7_S7_S7_S7_S6_S4_S4_.private_seg_size, 0
	.set _ZN9rocsolver6v33100L22stebz_splitting_kernelIdPdEEv15rocblas_erange_iT_S4_iiT0_iiS5_iiPiPS4_lS6_lS6_S7_S7_S7_S7_S6_S4_S4_.uses_vcc, 1
	.set _ZN9rocsolver6v33100L22stebz_splitting_kernelIdPdEEv15rocblas_erange_iT_S4_iiT0_iiS5_iiPiPS4_lS6_lS6_S7_S7_S7_S7_S6_S4_S4_.uses_flat_scratch, 0
	.set _ZN9rocsolver6v33100L22stebz_splitting_kernelIdPdEEv15rocblas_erange_iT_S4_iiT0_iiS5_iiPiPS4_lS6_lS6_S7_S7_S7_S7_S6_S4_S4_.has_dyn_sized_stack, 0
	.set _ZN9rocsolver6v33100L22stebz_splitting_kernelIdPdEEv15rocblas_erange_iT_S4_iiT0_iiS5_iiPiPS4_lS6_lS6_S7_S7_S7_S7_S6_S4_S4_.has_recursion, 0
	.set _ZN9rocsolver6v33100L22stebz_splitting_kernelIdPdEEv15rocblas_erange_iT_S4_iiT0_iiS5_iiPiPS4_lS6_lS6_S7_S7_S7_S7_S6_S4_S4_.has_indirect_call, 0
	.section	.AMDGPU.csdata,"",@progbits
; Kernel info:
; codeLenInByte = 5800
; TotalNumSgprs: 62
; NumVgprs: 30
; ScratchSize: 0
; MemoryBound: 0
; FloatMode: 240
; IeeeMode: 1
; LDSByteSize: 3072 bytes/workgroup (compile time only)
; SGPRBlocks: 7
; VGPRBlocks: 7
; NumSGPRsForWavesPerEU: 62
; NumVGPRsForWavesPerEU: 30
; Occupancy: 8
; WaveLimiterHint : 0
; COMPUTE_PGM_RSRC2:SCRATCH_EN: 0
; COMPUTE_PGM_RSRC2:USER_SGPR: 6
; COMPUTE_PGM_RSRC2:TRAP_HANDLER: 0
; COMPUTE_PGM_RSRC2:TGID_X_EN: 1
; COMPUTE_PGM_RSRC2:TGID_Y_EN: 1
; COMPUTE_PGM_RSRC2:TGID_Z_EN: 0
; COMPUTE_PGM_RSRC2:TIDIG_COMP_CNT: 0
	.section	.text._ZN9rocsolver6v33100L22stebz_bisection_kernelIdPdEEv15rocblas_erange_iT_T0_iiS5_iiPiPS4_lS6_lS6_lS6_S6_S7_S7_S7_S7_S6_S4_S4_,"axG",@progbits,_ZN9rocsolver6v33100L22stebz_bisection_kernelIdPdEEv15rocblas_erange_iT_T0_iiS5_iiPiPS4_lS6_lS6_lS6_S6_S7_S7_S7_S7_S6_S4_S4_,comdat
	.globl	_ZN9rocsolver6v33100L22stebz_bisection_kernelIdPdEEv15rocblas_erange_iT_T0_iiS5_iiPiPS4_lS6_lS6_lS6_S6_S7_S7_S7_S7_S6_S4_S4_ ; -- Begin function _ZN9rocsolver6v33100L22stebz_bisection_kernelIdPdEEv15rocblas_erange_iT_T0_iiS5_iiPiPS4_lS6_lS6_lS6_S6_S7_S7_S7_S7_S6_S4_S4_
	.p2align	8
	.type	_ZN9rocsolver6v33100L22stebz_bisection_kernelIdPdEEv15rocblas_erange_iT_T0_iiS5_iiPiPS4_lS6_lS6_lS6_S6_S7_S7_S7_S7_S6_S4_S4_,@function
_ZN9rocsolver6v33100L22stebz_bisection_kernelIdPdEEv15rocblas_erange_iT_T0_iiS5_iiPiPS4_lS6_lS6_lS6_S6_S7_S7_S7_S7_S6_S4_S4_: ; @_ZN9rocsolver6v33100L22stebz_bisection_kernelIdPdEEv15rocblas_erange_iT_T0_iiS5_iiPiPS4_lS6_lS6_lS6_S6_S7_S7_S7_S7_S6_S4_S4_
; %bb.0:
	s_load_dwordx16 s[8:23], s[4:5], 0x30
	s_mov_b32 s52, s7
	s_ashr_i32 s53, s7, 31
	s_lshl_b64 s[0:1], s[52:53], 2
	s_waitcnt lgkmcnt(0)
	s_add_u32 s2, s8, s0
	s_addc_u32 s3, s9, s1
	s_load_dword s33, s[2:3], 0x0
	s_waitcnt lgkmcnt(0)
	s_cmp_ge_i32 s6, s33
	s_cbranch_scc1 .LBB17_85
; %bb.1:
	s_load_dwordx8 s[24:31], s[4:5], 0x8
	s_load_dwordx2 s[34:35], s[4:5], 0x0
	s_load_dwordx2 s[2:3], s[4:5], 0x28
	s_load_dwordx8 s[36:43], s[4:5], 0x70
	s_mov_b32 s46, 0x55555780
	s_waitcnt lgkmcnt(0)
	s_mul_hi_i32 s45, s29, s52
	s_mul_i32 s44, s29, s52
	s_ashr_i32 s9, s28, 31
	s_lshl_b64 s[54:55], s[44:45], 3
	s_mov_b32 s8, s28
	s_add_u32 s7, s26, s54
	s_addc_u32 s28, s27, s55
	s_lshl_b64 s[56:57], s[8:9], 3
	s_add_u32 s64, s7, s56
	s_addc_u32 s65, s28, s57
	s_mul_hi_i32 s29, s3, s52
	s_mul_i32 s28, s3, s52
	s_ashr_i32 s9, s2, 31
	s_lshl_b64 s[58:59], s[28:29], 3
	s_mov_b32 s8, s2
	s_add_u32 s2, s30, s58
	s_addc_u32 s3, s31, s59
	s_lshl_b64 s[60:61], s[8:9], 3
	s_add_u32 s66, s2, s60
	s_addc_u32 s67, s3, s61
	s_mul_i32 s2, s12, s53
	s_mul_hi_u32 s3, s12, s52
	s_add_i32 s2, s3, s2
	s_mul_i32 s3, s13, s52
	s_add_i32 s3, s2, s3
	s_mul_i32 s2, s12, s52
	s_lshl_b64 s[2:3], s[2:3], 3
	s_add_u32 s68, s10, s2
	s_addc_u32 s69, s11, s3
	s_mul_i32 s2, s16, s53
	s_mul_hi_u32 s3, s16, s52
	s_add_i32 s2, s3, s2
	s_mul_i32 s3, s17, s52
	s_add_i32 s3, s2, s3
	s_mul_i32 s2, s16, s52
	;; [unrolled: 9-line block ×3, first 2 shown]
	s_lshl_b64 s[2:3], s[2:3], 2
	s_add_u32 s72, s18, s2
	s_addc_u32 s73, s19, s3
	s_add_i32 s2, s35, -1
	s_mul_i32 s2, s2, s52
	s_ashr_i32 s3, s2, 31
	s_lshl_b64 s[2:3], s[2:3], 3
	s_add_u32 s74, s40, s2
	s_addc_u32 s75, s41, s3
	s_lshl_b32 s2, s52, 1
	s_ashr_i32 s3, s2, 31
	s_lshl_b64 s[2:3], s[2:3], 3
	s_add_u32 s16, s42, s2
	s_addc_u32 s17, s43, s3
	s_lshl_b64 s[2:3], s[52:53], 3
	s_add_u32 s2, s38, s2
	s_addc_u32 s3, s39, s3
	s_load_dwordx2 s[18:19], s[2:3], 0x0
	s_mov_b32 s20, 0x55555555
	s_mov_b32 s21, 0x3fe55555
	;; [unrolled: 1-line block ×4, first 2 shown]
	s_waitcnt lgkmcnt(0)
	v_frexp_mant_f64_e32 v[1:2], s[18:19]
	s_mov_b32 s40, 0x16291751
	s_mov_b32 s41, 0x3fcc71c0
	;; [unrolled: 1-line block ×7, first 2 shown]
	v_cmp_gt_f64_e32 vcc, s[20:21], v[1:2]
	s_mov_b32 s48, 0xfefa39ef
	s_mov_b32 s49, 0x3fe62e42
	;; [unrolled: 1-line block ×4, first 2 shown]
	s_load_dwordx8 s[8:15], s[4:5], 0x90
	s_waitcnt lgkmcnt(0)
	s_add_u32 s14, s22, s0
	s_mul_i32 s22, s35, s52
	v_cndmask_b32_e64 v3, 0, 1, vcc
	v_ldexp_f64 v[1:2], v[1:2], v3
	s_addc_u32 s15, s23, s1
	s_lshl_b32 s28, s22, 2
	s_ashr_i32 s29, s28, 31
	s_lshl_b64 s[52:53], s[28:29], 3
	s_add_u32 s77, s8, s52
	s_addc_u32 s78, s9, s53
	s_lshl_b64 s[8:9], s[28:29], 2
	v_add_f64 v[3:4], v[1:2], 1.0
	v_add_f64 v[9:10], v[1:2], -1.0
	v_mov_b32_e32 v21, 0x7ff80000
	s_add_u32 s79, s10, s8
	s_addc_u32 s80, s11, s9
	s_ashr_i32 s23, s22, 31
	s_lshl_b64 s[8:9], s[22:23], 2
	s_add_u32 s81, s36, s8
	v_rcp_f64_e32 v[5:6], v[3:4]
	v_add_f64 v[11:12], v[3:4], -1.0
	s_addc_u32 s82, s37, s9
	s_cmpk_lg_i32 s34, 0xe7
	s_cselect_b64 s[22:23], -1, 0
	s_add_u32 s7, s54, s56
	s_addc_u32 s8, s55, s57
	s_add_u32 s7, s26, s7
	s_addc_u32 s8, s27, s8
	v_add_f64 v[1:2], v[1:2], -v[11:12]
	v_cmp_lt_f64_e64 s[4:5], s[24:25], 0
	s_add_u32 s34, s7, 8
	s_addc_u32 s83, s8, 0
	s_add_u32 s7, s58, s60
	s_addc_u32 s8, s59, s61
	s_add_u32 s7, s30, s7
	v_fma_f64 v[7:8], -v[3:4], v[5:6], 1.0
	s_addc_u32 s8, s31, s8
	v_mov_b32_e32 v22, 0xfff00000
	s_add_u32 s84, s7, 8
	v_cmp_eq_u32_e64 s[0:1], 0, v0
	v_lshlrev_b32_e32 v23, 5, v0
	v_mov_b32_e32 v24, 0
	s_addc_u32 s85, s8, 0
	v_fma_f64 v[5:6], v[7:8], v[5:6], v[5:6]
	v_mov_b32_e32 v27, 1
                                        ; implicit-def: $sgpr86
                                        ; implicit-def: $sgpr87
                                        ; implicit-def: $sgpr88
                                        ; implicit-def: $sgpr89
                                        ; implicit-def: $vgpr28
	v_fma_f64 v[7:8], -v[3:4], v[5:6], 1.0
	v_fma_f64 v[5:6], v[7:8], v[5:6], v[5:6]
	v_mul_f64 v[7:8], v[9:10], v[5:6]
	v_mul_f64 v[13:14], v[3:4], v[7:8]
	v_fma_f64 v[3:4], v[7:8], v[3:4], -v[13:14]
	v_fma_f64 v[1:2], v[7:8], v[1:2], v[3:4]
	v_add_f64 v[3:4], v[13:14], v[1:2]
	v_add_f64 v[11:12], v[9:10], -v[3:4]
	v_add_f64 v[13:14], v[3:4], -v[13:14]
	;; [unrolled: 1-line block ×4, first 2 shown]
	v_mov_b32_e32 v13, 0x6b47b09a
	v_mov_b32_e32 v14, 0x3fc38538
	v_add_f64 v[3:4], v[9:10], -v[3:4]
	v_add_f64 v[1:2], v[1:2], v[3:4]
	v_add_f64 v[1:2], v[11:12], v[1:2]
	v_mul_f64 v[1:2], v[5:6], v[1:2]
	v_add_f64 v[3:4], v[7:8], v[1:2]
	v_mul_f64 v[5:6], v[3:4], v[3:4]
	v_fma_f64 v[9:10], v[5:6], s[2:3], v[13:14]
	s_mov_b32 s2, 0xd7f4df2e
	s_mov_b32 s3, 0x3fc7474d
	v_mul_f64 v[11:12], v[3:4], v[5:6]
	v_fma_f64 v[9:10], v[5:6], v[9:10], s[2:3]
	v_cmp_ne_u32_e64 s[2:3], 0, v0
	v_fma_f64 v[9:10], v[5:6], v[9:10], s[40:41]
	v_fma_f64 v[9:10], v[5:6], v[9:10], s[42:43]
	;; [unrolled: 1-line block ×4, first 2 shown]
	v_ldexp_f64 v[9:10], v[3:4], 1
	v_add_f64 v[3:4], v[3:4], -v[7:8]
	v_mul_f64 v[5:6], v[11:12], v[5:6]
	v_frexp_exp_i32_f64_e32 v11, s[18:19]
	v_add_f64 v[1:2], v[1:2], -v[3:4]
	v_add_f64 v[7:8], v[9:10], v[5:6]
	v_subbrev_co_u32_e32 v11, vcc, 0, v11, vcc
	v_cvt_f64_i32_e32 v[11:12], v11
	v_ldexp_f64 v[1:2], v[1:2], 1
	v_mul_f64 v[15:16], v[11:12], s[48:49]
	v_add_f64 v[3:4], v[7:8], -v[9:10]
	v_fma_f64 v[9:10], v[11:12], s[48:49], -v[15:16]
	v_add_f64 v[3:4], v[5:6], -v[3:4]
	v_fma_f64 v[5:6], v[11:12], s[50:51], v[9:10]
	v_add_f64 v[1:2], v[1:2], v[3:4]
	v_add_f64 v[3:4], v[15:16], v[5:6]
	;; [unrolled: 1-line block ×3, first 2 shown]
	v_add_f64 v[15:16], v[3:4], -v[15:16]
	v_add_f64 v[11:12], v[3:4], v[9:10]
	v_add_f64 v[7:8], v[9:10], -v[7:8]
	v_add_f64 v[5:6], v[5:6], -v[15:16]
	;; [unrolled: 1-line block ×4, first 2 shown]
	v_mov_b32_e32 v15, 0x1800
	v_mov_b32_e32 v16, 0x1000
	v_lshl_or_b32 v25, v0, 2, v15
	v_lshl_or_b32 v26, v0, 4, v16
	v_add_f64 v[15:16], s[12:13], s[12:13]
	v_add_f64 v[19:20], v[11:12], -v[17:18]
	v_add_f64 v[7:8], v[9:10], -v[17:18]
	v_add_f64 v[9:10], v[5:6], v[1:2]
	v_add_f64 v[3:4], v[3:4], -v[19:20]
	v_mov_b32_e32 v19, 0x204
	v_cmp_class_f64_e32 vcc, s[18:19], v19
	v_add_f64 v[3:4], v[7:8], v[3:4]
	v_add_f64 v[7:8], v[9:10], -v[5:6]
	v_add_f64 v[3:4], v[9:10], v[3:4]
	v_add_f64 v[9:10], v[9:10], -v[7:8]
	v_add_f64 v[1:2], v[1:2], -v[7:8]
	v_add_f64 v[17:18], v[11:12], v[3:4]
	v_add_f64 v[5:6], v[5:6], -v[9:10]
	v_mov_b32_e32 v9, s18
	v_mov_b32_e32 v10, s19
	v_add_f64 v[7:8], v[17:18], -v[11:12]
	v_add_f64 v[1:2], v[1:2], v[5:6]
	v_add_f64 v[3:4], v[3:4], -v[7:8]
	v_add_f64 v[1:2], v[1:2], v[3:4]
	v_add_f64 v[1:2], v[17:18], v[1:2]
	v_cndmask_b32_e32 v1, v1, v9, vcc
	v_cndmask_b32_e32 v2, v2, v10, vcc
	v_cmp_nlt_f64_e64 vcc, s[18:19], 0
	v_cndmask_b32_e32 v2, v21, v2, vcc
	v_cmp_nle_f64_e64 vcc, s[18:19], 0
	v_cndmask_b32_e32 v17, 0, v1, vcc
	v_cmp_neq_f64_e64 vcc, s[18:19], 0
	v_cndmask_b32_e32 v18, v22, v2, vcc
	s_branch .LBB17_4
.LBB17_2:                               ;   in Loop: Header=BB17_4 Depth=1
	s_or_b64 exec, exec, s[8:9]
	v_mov_b32_e32 v4, v28
	s_mov_b32 s47, s89
	s_mov_b32 s7, s88
	;; [unrolled: 1-line block ×4, first 2 shown]
.LBB17_3:                               ;   in Loop: Header=BB17_4 Depth=1
	s_add_i32 s6, s6, 64
	s_cmp_lt_i32 s6, s33
	s_mov_b32 s86, s27
	s_mov_b32 s87, s90
	;; [unrolled: 1-line block ×4, first 2 shown]
	v_mov_b32_e32 v28, v4
	s_waitcnt vmcnt(0)
	s_barrier
	s_cbranch_scc0 .LBB17_85
.LBB17_4:                               ; =>This Loop Header: Depth=1
                                        ;     Child Loop BB17_9 Depth 2
                                        ;     Child Loop BB17_20 Depth 2
                                        ;     Child Loop BB17_23 Depth 2
                                        ;     Child Loop BB17_32 Depth 2
                                        ;       Child Loop BB17_37 Depth 3
                                        ;         Child Loop BB17_40 Depth 4
                                        ;         Child Loop BB17_53 Depth 4
                                        ;     Child Loop BB17_69 Depth 2
                                        ;       Child Loop BB17_71 Depth 3
	s_ashr_i32 s7, s6, 31
	s_cmp_eq_u32 s6, 0
	s_mov_b32 s26, 0
	s_cbranch_scc1 .LBB17_6
; %bb.5:                                ;   in Loop: Header=BB17_4 Depth=1
	s_lshl_b64 s[8:9], s[6:7], 2
	s_add_u32 s8, s72, s8
	s_addc_u32 s9, s73, s9
	global_load_dword v1, v24, s[8:9] offset:-4
	s_waitcnt vmcnt(0)
	v_readfirstlane_b32 s26, v1
.LBB17_6:                               ;   in Loop: Header=BB17_4 Depth=1
	s_lshl_b64 s[30:31], s[6:7], 2
	s_add_u32 s8, s72, s30
	s_addc_u32 s9, s73, s31
	global_load_dword v1, v24, s[8:9]
	s_waitcnt vmcnt(0)
	v_readfirstlane_b32 s90, v1
	s_sub_i32 s10, s90, s26
	s_cmp_lg_u32 s10, 1
	s_cbranch_scc0 .LBB17_63
; %bb.7:                                ;   in Loop: Header=BB17_4 Depth=1
	s_ashr_i32 s27, s26, 31
	s_lshl_b64 s[52:53], s[26:27], 3
	s_add_u32 s36, s64, s52
	s_addc_u32 s37, s65, s53
	s_add_u32 s8, s66, s52
	s_addc_u32 s9, s67, s53
	global_load_dwordx2 v[9:10], v24, s[36:37]
	global_load_dwordx2 v[5:6], v24, s[8:9]
	s_cmp_lt_i32 s10, 3
	s_waitcnt vmcnt(0)
	v_add_f64 v[1:2], v[9:10], -|v[5:6]|
	v_add_f64 v[3:4], v[9:10], |v[5:6]|
	v_and_b32_e32 v6, 0x7fffffff, v6
	s_cbranch_scc1 .LBB17_10
; %bb.8:                                ;   in Loop: Header=BB17_4 Depth=1
	s_add_i32 s7, s10, -2
	s_add_u32 s54, s34, s52
	s_addc_u32 s55, s83, s53
	s_add_u32 s56, s84, s52
	s_addc_u32 s57, s85, s53
.LBB17_9:                               ;   Parent Loop BB17_4 Depth=1
                                        ; =>  This Inner Loop Header: Depth=2
	global_load_dwordx2 v[7:8], v24, s[54:55]
	global_load_dwordx2 v[11:12], v24, s[56:57]
	s_add_i32 s7, s7, -1
	s_add_u32 s54, s54, 8
	s_addc_u32 s55, s55, 0
	s_add_u32 s56, s56, 8
	s_addc_u32 s57, s57, 0
	s_cmp_lg_u32 s7, 0
	s_waitcnt vmcnt(1)
	v_add_f64 v[19:20], v[7:8], -v[5:6]
	v_add_f64 v[5:6], v[5:6], v[7:8]
	s_waitcnt vmcnt(0)
	v_add_f64 v[7:8], v[19:20], -|v[11:12]|
	v_add_f64 v[19:20], v[5:6], |v[11:12]|
	v_and_b32_e32 v6, 0x7fffffff, v12
	v_mov_b32_e32 v5, v11
	v_cmp_lt_f64_e32 vcc, v[7:8], v[1:2]
	v_cmp_lt_f64_e64 s[8:9], v[3:4], v[19:20]
	v_cndmask_b32_e32 v2, v2, v8, vcc
	v_cndmask_b32_e64 v4, v4, v20, s[8:9]
	v_cndmask_b32_e32 v1, v1, v7, vcc
	v_cndmask_b32_e64 v3, v3, v19, s[8:9]
	s_cbranch_scc1 .LBB17_9
.LBB17_10:                              ;   in Loop: Header=BB17_4 Depth=1
	s_ashr_i32 s11, s10, 31
	s_lshl_b64 s[8:9], s[10:11], 3
	s_add_u32 s8, s36, s8
	s_addc_u32 s9, s37, s9
	global_load_dwordx2 v[7:8], v24, s[8:9] offset:-8
	s_waitcnt vmcnt(0)
	v_add_f64 v[11:12], v[7:8], -v[5:6]
	v_add_f64 v[5:6], v[5:6], v[7:8]
	v_cmp_lt_f64_e32 vcc, v[11:12], v[1:2]
	v_cmp_lt_f64_e64 s[8:9], v[3:4], v[5:6]
	v_cndmask_b32_e32 v7, v2, v12, vcc
	v_cndmask_b32_e64 v4, v4, v6, s[8:9]
	v_cndmask_b32_e32 v6, v1, v11, vcc
	v_cndmask_b32_e64 v3, v3, v5, s[8:9]
	v_cmp_lt_f64_e64 vcc, |v[6:7]|, |v[3:4]|
	v_cvt_f64_i32_e32 v[11:12], s10
	v_cndmask_b32_e32 v2, v7, v4, vcc
	v_cndmask_b32_e32 v1, v6, v3, vcc
	v_mul_f64 v[1:2], s[12:13], |v[1:2]|
	s_andn2_b64 vcc, exec, s[22:23]
	v_fma_f64 v[5:6], -v[1:2], v[11:12], v[6:7]
	v_fma_f64 v[3:4], v[1:2], v[11:12], v[3:4]
	v_add_f64 v[5:6], v[5:6], -s[18:19]
	v_add_f64 v[7:8], s[18:19], v[3:4]
	s_cbranch_vccnz .LBB17_12
; %bb.11:                               ;   in Loop: Header=BB17_4 Depth=1
	global_load_dwordx4 v[29:32], v24, s[16:17]
	s_waitcnt vmcnt(0)
	v_cmp_lt_f64_e32 vcc, v[5:6], v[29:30]
	v_cmp_lt_f64_e64 s[8:9], v[31:32], v[7:8]
	v_cndmask_b32_e32 v6, v6, v30, vcc
	v_cndmask_b32_e64 v8, v8, v32, s[8:9]
	v_cndmask_b32_e32 v5, v5, v29, vcc
	v_cndmask_b32_e64 v7, v7, v31, s[8:9]
.LBB17_12:                              ;   in Loop: Header=BB17_4 Depth=1
	v_cmp_nlt_f64_e32 vcc, v[5:6], v[7:8]
	s_mov_b64 s[8:9], -1
	s_cbranch_vccz .LBB17_16
; %bb.13:                               ;   in Loop: Header=BB17_4 Depth=1
	s_and_saveexec_b64 s[8:9], s[0:1]
	s_cbranch_execz .LBB17_15
; %bb.14:                               ;   in Loop: Header=BB17_4 Depth=1
	s_add_u32 s28, s81, s30
	s_addc_u32 s29, s82, s31
	ds_write_b16 v24, v24 offset:6660
	global_store_dword v24, v24, s[28:29]
.LBB17_15:                              ;   in Loop: Header=BB17_4 Depth=1
	s_or_b64 exec, exec, s[8:9]
	s_mov_b64 s[8:9], 0
.LBB17_16:                              ;   in Loop: Header=BB17_4 Depth=1
	s_andn2_b64 vcc, exec, s[8:9]
	v_mov_b32_e32 v4, v28
	s_mov_b32 s47, s89
	s_mov_b32 s7, s88
	;; [unrolled: 1-line block ×3, first 2 shown]
	s_cbranch_vccnz .LBB17_29
; %bb.17:                               ;   in Loop: Header=BB17_4 Depth=1
	v_add_f64 v[3:4], v[7:8], -v[5:6]
	s_mov_b32 s8, 0xbf559e2b
	s_mov_b32 s9, 0x3fc3ab76
	;; [unrolled: 1-line block ×3, first 2 shown]
	s_movk_i32 s7, 0x204
	v_add_f64 v[3:4], s[18:19], v[3:4]
	v_frexp_mant_f64_e32 v[11:12], v[3:4]
	v_cmp_gt_f64_e32 vcc, s[20:21], v[11:12]
	v_cndmask_b32_e64 v19, 0, 1, vcc
	v_ldexp_f64 v[11:12], v[11:12], v19
	v_add_f64 v[19:20], v[11:12], 1.0
	v_add_f64 v[33:34], v[11:12], -1.0
	v_rcp_f64_e32 v[29:30], v[19:20]
	v_add_f64 v[35:36], v[19:20], -1.0
	v_add_f64 v[11:12], v[11:12], -v[35:36]
	v_fma_f64 v[31:32], -v[19:20], v[29:30], 1.0
	v_fma_f64 v[29:30], v[31:32], v[29:30], v[29:30]
	v_fma_f64 v[31:32], -v[19:20], v[29:30], 1.0
	v_fma_f64 v[29:30], v[31:32], v[29:30], v[29:30]
	v_mul_f64 v[31:32], v[33:34], v[29:30]
	v_mul_f64 v[37:38], v[19:20], v[31:32]
	v_fma_f64 v[19:20], v[31:32], v[19:20], -v[37:38]
	v_fma_f64 v[11:12], v[31:32], v[11:12], v[19:20]
	v_add_f64 v[19:20], v[37:38], v[11:12]
	v_add_f64 v[35:36], v[33:34], -v[19:20]
	v_add_f64 v[37:38], v[19:20], -v[37:38]
	;; [unrolled: 1-line block ×5, first 2 shown]
	v_add_f64 v[11:12], v[11:12], v[19:20]
	v_add_f64 v[11:12], v[35:36], v[11:12]
	v_mul_f64 v[11:12], v[29:30], v[11:12]
	v_add_f64 v[19:20], v[31:32], v[11:12]
	v_mul_f64 v[29:30], v[19:20], v[19:20]
	v_fma_f64 v[33:34], v[29:30], s[8:9], v[13:14]
	s_mov_b32 s8, 0xd7f4df2e
	s_mov_b32 s9, 0x3fc7474d
	v_mul_f64 v[35:36], v[19:20], v[29:30]
	v_fma_f64 v[33:34], v[29:30], v[33:34], s[8:9]
	v_fma_f64 v[33:34], v[29:30], v[33:34], s[40:41]
	;; [unrolled: 1-line block ×5, first 2 shown]
	v_ldexp_f64 v[33:34], v[19:20], 1
	v_add_f64 v[19:20], v[19:20], -v[31:32]
	v_mul_f64 v[29:30], v[35:36], v[29:30]
	v_frexp_exp_i32_f64_e32 v35, v[3:4]
	v_add_f64 v[11:12], v[11:12], -v[19:20]
	v_add_f64 v[31:32], v[33:34], v[29:30]
	v_subbrev_co_u32_e32 v35, vcc, 0, v35, vcc
	v_cvt_f64_i32_e32 v[35:36], v35
	v_ldexp_f64 v[11:12], v[11:12], 1
	v_cmp_class_f64_e64 vcc, v[3:4], s7
	v_mul_f64 v[37:38], v[35:36], s[48:49]
	v_add_f64 v[19:20], v[31:32], -v[33:34]
	v_fma_f64 v[33:34], v[35:36], s[48:49], -v[37:38]
	v_add_f64 v[19:20], v[29:30], -v[19:20]
	v_fma_f64 v[29:30], v[35:36], s[50:51], v[33:34]
	v_add_f64 v[11:12], v[11:12], v[19:20]
	v_add_f64 v[19:20], v[37:38], v[29:30]
	;; [unrolled: 1-line block ×3, first 2 shown]
	v_add_f64 v[37:38], v[19:20], -v[37:38]
	v_add_f64 v[35:36], v[19:20], v[33:34]
	v_add_f64 v[31:32], v[33:34], -v[31:32]
	v_add_f64 v[29:30], v[29:30], -v[37:38]
	;; [unrolled: 1-line block ×6, first 2 shown]
	v_add_f64 v[33:34], v[29:30], v[11:12]
	v_add_f64 v[19:20], v[19:20], -v[41:42]
	v_add_f64 v[19:20], v[31:32], v[19:20]
	v_add_f64 v[31:32], v[33:34], -v[29:30]
	;; [unrolled: 2-line block ×3, first 2 shown]
	v_add_f64 v[11:12], v[11:12], -v[31:32]
	v_add_f64 v[37:38], v[35:36], v[19:20]
	v_add_f64 v[29:30], v[29:30], -v[33:34]
	v_add_f64 v[31:32], v[37:38], -v[35:36]
	v_add_f64 v[11:12], v[11:12], v[29:30]
	v_add_f64 v[19:20], v[19:20], -v[31:32]
	v_add_f64 v[11:12], v[11:12], v[19:20]
	v_add_f64 v[11:12], v[37:38], v[11:12]
	v_cndmask_b32_e32 v11, v11, v3, vcc
	v_cndmask_b32_e32 v12, v12, v4, vcc
	v_cmp_ngt_f64_e32 vcc, 0, v[3:4]
	v_cndmask_b32_e32 v12, v21, v12, vcc
	v_cmp_nge_f64_e32 vcc, 0, v[3:4]
	v_cndmask_b32_e32 v11, 0, v11, vcc
	v_cmp_neq_f64_e32 vcc, 0, v[3:4]
	v_cndmask_b32_e32 v12, v22, v12, vcc
	v_add_f64 v[3:4], v[11:12], -v[17:18]
	v_div_scale_f64 v[11:12], s[8:9], s[48:49], s[48:49], v[3:4]
	v_rcp_f64_e32 v[19:20], v[11:12]
	v_fma_f64 v[29:30], -v[11:12], v[19:20], 1.0
	v_fma_f64 v[19:20], v[19:20], v[29:30], v[19:20]
	v_div_scale_f64 v[29:30], vcc, v[3:4], s[48:49], v[3:4]
	v_fma_f64 v[31:32], -v[11:12], v[19:20], 1.0
	v_fma_f64 v[19:20], v[19:20], v[31:32], v[19:20]
	v_mul_f64 v[31:32], v[29:30], v[19:20]
	v_fma_f64 v[11:12], -v[11:12], v[31:32], v[29:30]
	v_div_fmas_f64 v[11:12], v[11:12], v[19:20], v[31:32]
	v_div_fixup_f64 v[3:4], v[11:12], s[48:49], v[3:4]
	v_cvt_i32_f64_e32 v3, v[3:4]
	v_mov_b32_e32 v4, v28
	v_readfirstlane_b32 s7, v3
	s_and_saveexec_b64 s[54:55], s[0:1]
	s_cbranch_execz .LBB17_28
; %bb.18:                               ;   in Loop: Header=BB17_4 Depth=1
	v_add_f64 v[11:12], v[9:10], -v[5:6]
	s_add_u32 s56, s74, s52
	s_addc_u32 s57, s75, s53
	s_cmp_gt_i32 s10, 1
	s_cselect_b64 s[58:59], -1, 0
	s_cmp_lt_i32 s10, 2
	ds_write_b8 v24, v24 offset:6661
	v_cmp_ge_f64_e32 vcc, s[18:19], v[11:12]
	v_cndmask_b32_e64 v3, 0, 1, vcc
	s_cbranch_scc1 .LBB17_21
; %bb.19:                               ;   in Loop: Header=BB17_4 Depth=1
	v_cmp_gt_f64_e64 s[8:9], v[11:12], -s[18:19]
	s_not_b32 s27, s26
	s_xor_b32 s11, s19, 0x80000000
	s_add_i32 s27, s27, s90
	v_mov_b32_e32 v4, s18
	v_mov_b32_e32 v19, s11
	s_mov_b64 s[62:63], s[56:57]
	s_and_b64 vcc, vcc, s[8:9]
	s_add_u32 s60, s34, s52
	v_cndmask_b32_e32 v12, v12, v19, vcc
	v_cndmask_b32_e32 v11, v11, v4, vcc
	s_addc_u32 s61, s83, s53
.LBB17_20:                              ;   Parent Loop BB17_4 Depth=1
                                        ; =>  This Inner Loop Header: Depth=2
	global_load_dwordx2 v[19:20], v24, s[62:63]
	global_load_dwordx2 v[29:30], v24, s[60:61]
	s_add_i32 s27, s27, -1
	v_mov_b32_e32 v4, s11
	s_waitcnt vmcnt(1)
	v_div_scale_f64 v[31:32], s[8:9], v[11:12], v[11:12], v[19:20]
	s_waitcnt vmcnt(0)
	v_add_f64 v[29:30], v[29:30], -v[5:6]
	v_rcp_f64_e32 v[33:34], v[31:32]
	v_fma_f64 v[35:36], -v[31:32], v[33:34], 1.0
	v_fma_f64 v[33:34], v[33:34], v[35:36], v[33:34]
	v_div_scale_f64 v[35:36], vcc, v[19:20], v[11:12], v[19:20]
	v_fma_f64 v[37:38], -v[31:32], v[33:34], 1.0
	v_fma_f64 v[33:34], v[33:34], v[37:38], v[33:34]
	v_mul_f64 v[37:38], v[35:36], v[33:34]
	v_fma_f64 v[31:32], -v[31:32], v[37:38], v[35:36]
	v_div_fmas_f64 v[31:32], v[31:32], v[33:34], v[37:38]
	v_div_fixup_f64 v[11:12], v[31:32], v[11:12], v[19:20]
	v_mov_b32_e32 v19, s18
	v_add_f64 v[11:12], v[29:30], -v[11:12]
	v_cmp_ge_f64_e32 vcc, s[18:19], v[11:12]
	v_cmp_gt_f64_e64 s[28:29], v[11:12], -s[18:19]
	v_addc_co_u32_e64 v3, s[8:9], 0, v3, vcc
	s_and_b64 vcc, vcc, s[28:29]
	s_add_u32 s60, s60, 8
	s_addc_u32 s61, s61, 0
	s_add_u32 s62, s62, 8
	s_addc_u32 s63, s63, 0
	v_cndmask_b32_e32 v12, v12, v4, vcc
	s_cmp_lg_u32 s27, 0
	v_cndmask_b32_e32 v11, v11, v19, vcc
	s_cbranch_scc1 .LBB17_20
.LBB17_21:                              ;   in Loop: Header=BB17_4 Depth=1
	v_add_f64 v[9:10], v[9:10], -v[7:8]
	s_andn2_b64 vcc, exec, s[58:59]
	v_cmp_ge_f64_e64 s[8:9], s[18:19], v[9:10]
	v_cndmask_b32_e64 v4, 0, 1, s[8:9]
	s_cbranch_vccnz .LBB17_24
; %bb.22:                               ;   in Loop: Header=BB17_4 Depth=1
	v_cmp_gt_f64_e64 s[28:29], v[9:10], -s[18:19]
	s_not_b32 s27, s26
	s_xor_b32 s11, s19, 0x80000000
	s_add_i32 s27, s27, s90
	v_mov_b32_e32 v11, s18
	v_mov_b32_e32 v12, s11
	s_and_b64 vcc, s[8:9], s[28:29]
	s_add_u32 s58, s34, s52
	v_cndmask_b32_e32 v10, v10, v12, vcc
	v_cndmask_b32_e32 v9, v9, v11, vcc
	s_addc_u32 s59, s83, s53
.LBB17_23:                              ;   Parent Loop BB17_4 Depth=1
                                        ; =>  This Inner Loop Header: Depth=2
	global_load_dwordx2 v[11:12], v24, s[56:57]
	global_load_dwordx2 v[19:20], v24, s[58:59]
	s_add_i32 s27, s27, -1
	s_waitcnt vmcnt(1)
	v_div_scale_f64 v[29:30], s[8:9], v[9:10], v[9:10], v[11:12]
	s_waitcnt vmcnt(0)
	v_add_f64 v[19:20], v[19:20], -v[7:8]
	v_rcp_f64_e32 v[31:32], v[29:30]
	v_fma_f64 v[33:34], -v[29:30], v[31:32], 1.0
	v_fma_f64 v[31:32], v[31:32], v[33:34], v[31:32]
	v_div_scale_f64 v[33:34], vcc, v[11:12], v[9:10], v[11:12]
	v_fma_f64 v[35:36], -v[29:30], v[31:32], 1.0
	v_fma_f64 v[31:32], v[31:32], v[35:36], v[31:32]
	v_mul_f64 v[35:36], v[33:34], v[31:32]
	v_fma_f64 v[29:30], -v[29:30], v[35:36], v[33:34]
	v_div_fmas_f64 v[29:30], v[29:30], v[31:32], v[35:36]
	v_div_fixup_f64 v[9:10], v[29:30], v[9:10], v[11:12]
	v_mov_b32_e32 v11, s11
	v_mov_b32_e32 v12, s18
	v_add_f64 v[9:10], v[19:20], -v[9:10]
	v_cmp_ge_f64_e32 vcc, s[18:19], v[9:10]
	v_cmp_gt_f64_e64 s[28:29], v[9:10], -s[18:19]
	v_addc_co_u32_e64 v4, s[8:9], 0, v4, vcc
	s_and_b64 vcc, vcc, s[28:29]
	s_add_u32 s58, s58, 8
	s_addc_u32 s59, s59, 0
	s_add_u32 s56, s56, 8
	s_addc_u32 s57, s57, 0
	v_cndmask_b32_e32 v10, v10, v11, vcc
	s_cmp_lg_u32 s27, 0
	v_cndmask_b32_e32 v9, v9, v12, vcc
	s_cbranch_scc1 .LBB17_23
.LBB17_24:                              ;   in Loop: Header=BB17_4 Depth=1
	v_sub_u32_e32 v9, v4, v3
	v_cmp_gt_i32_e32 vcc, 1, v9
	s_mov_b64 s[8:9], -1
	s_cbranch_vccz .LBB17_26
; %bb.25:                               ;   in Loop: Header=BB17_4 Depth=1
	s_add_u32 s8, s81, s30
	s_addc_u32 s9, s82, s31
	ds_write_b8 v24, v24 offset:6660
	global_store_dword v24, v24, s[8:9]
	s_mov_b64 s[8:9], 0
.LBB17_26:                              ;   in Loop: Header=BB17_4 Depth=1
	s_andn2_b64 vcc, exec, s[8:9]
	s_cbranch_vccnz .LBB17_28
; %bb.27:                               ;   in Loop: Header=BB17_4 Depth=1
	s_add_i32 s8, s26, s35
	s_lshl_b32 s8, s8, 1
	s_ashr_i32 s9, s8, 31
	s_lshl_b64 s[28:29], s[8:9], 3
	s_add_u32 s28, s77, s28
	s_addc_u32 s29, s78, s29
	global_store_dwordx4 v24, v[5:8], s[28:29]
	s_add_u32 s28, s81, s30
	s_addc_u32 s29, s82, s31
	s_lshl_b64 s[8:9], s[8:9], 2
	s_add_u32 s8, s79, s8
	s_addc_u32 s9, s80, s9
	ds_write_b8 v24, v27 offset:6660
	global_store_dword v24, v9, s[28:29]
	global_store_dwordx2 v24, v[3:4], s[8:9]
.LBB17_28:                              ;   in Loop: Header=BB17_4 Depth=1
	s_or_b64 exec, exec, s[54:55]
	s_add_i32 s7, s7, 2
	s_mov_b32 s27, 0
	s_mov_b32 s47, 1
.LBB17_29:                              ;   in Loop: Header=BB17_4 Depth=1
	s_waitcnt vmcnt(0) lgkmcnt(0)
	s_barrier
	ds_read_u16 v3, v24 offset:6660
	s_waitcnt lgkmcnt(0)
	v_readfirstlane_b32 s8, v3
	s_bitcmp1_b32 s8, 0
	s_cselect_b64 s[58:59], -1, 0
	s_bitcmp1_b32 s8, 8
	s_cselect_b64 s[8:9], -1, 0
	s_xor_b64 s[28:29], s[8:9], -1
	s_and_b64 s[28:29], s[58:59], s[28:29]
	s_cmp_lt_i32 s27, s7
	s_cselect_b64 s[54:55], -1, 0
	s_and_b64 s[28:29], s[28:29], s[54:55]
	s_andn2_b64 vcc, exec, s[28:29]
	s_cbranch_vccnz .LBB17_64
; %bb.30:                               ;   in Loop: Header=BB17_4 Depth=1
	v_mov_b32_e32 v3, s25
	v_cndmask_b32_e64 v2, v3, v2, s[4:5]
	v_mov_b32_e32 v3, s24
	v_cndmask_b32_e64 v1, v3, v1, s[4:5]
	v_cmp_gt_f64_e32 vcc, s[18:19], v[1:2]
	s_add_i32 s8, s26, s35
	s_lshl_b32 s91, s26, 1
	s_lshl_b32 s92, s8, 1
	s_add_u32 s54, s74, s52
	s_addc_u32 s55, s75, s53
	s_cmp_gt_i32 s10, 1
	s_cselect_b64 s[56:57], -1, 0
	s_not_b32 s28, s26
	s_add_i32 s28, s28, s90
	v_mov_b32_e32 v3, s19
	v_mov_b32_e32 v5, s18
	s_add_u32 s52, s34, s52
	v_cndmask_b32_e32 v20, v2, v3, vcc
	v_cndmask_b32_e32 v19, v1, v5, vcc
	s_addc_u32 s53, s83, s53
	s_branch .LBB17_32
.LBB17_31:                              ;   in Loop: Header=BB17_32 Depth=2
	s_or_b64 exec, exec, s[8:9]
	s_waitcnt lgkmcnt(0)
	s_barrier
	ds_read_u16 v1, v24 offset:6660
	s_add_i32 s27, s27, 1
	s_waitcnt lgkmcnt(0)
	v_readfirstlane_b32 s8, v1
	s_bitcmp1_b32 s8, 0
	s_cselect_b64 s[58:59], -1, 0
	s_bitcmp1_b32 s8, 8
	s_cselect_b64 s[8:9], -1, 0
	s_xor_b64 s[10:11], s[8:9], -1
	s_and_b64 s[10:11], s[58:59], s[10:11]
	s_cmp_lt_i32 s27, s7
	s_cselect_b64 s[38:39], -1, 0
	s_and_b64 s[10:11], s[10:11], s[38:39]
	s_and_b64 vcc, exec, s[10:11]
	s_cbranch_vccz .LBB17_65
.LBB17_32:                              ;   Parent Loop BB17_4 Depth=1
                                        ; =>  This Loop Header: Depth=2
                                        ;       Child Loop BB17_37 Depth 3
                                        ;         Child Loop BB17_40 Depth 4
                                        ;         Child Loop BB17_53 Depth 4
	s_and_saveexec_b64 s[8:9], s[0:1]
; %bb.33:                               ;   in Loop: Header=BB17_32 Depth=2
	ds_write_b32 v24, v24 offset:6656
; %bb.34:                               ;   in Loop: Header=BB17_32 Depth=2
	s_or_b64 exec, exec, s[8:9]
	s_bitcmp0_b32 s27, 0
	s_cselect_b64 s[8:9], -1, 0
	s_and_b64 s[10:11], s[8:9], exec
	s_cselect_b32 s90, s91, s92
	s_cmp_lt_i32 s47, 1
	s_cbranch_scc1 .LBB17_60
; %bb.35:                               ;   in Loop: Header=BB17_32 Depth=2
	s_and_b64 s[8:9], s[8:9], exec
	s_cselect_b32 s94, s92, s91
	s_mov_b32 s95, 0
	s_branch .LBB17_37
.LBB17_36:                              ;   in Loop: Header=BB17_37 Depth=3
	s_or_b64 exec, exec, s[8:9]
	s_addk_i32 s95, 0x80
	s_cmp_ge_i32 s95, s47
	s_waitcnt lgkmcnt(0)
	s_barrier
	s_cbranch_scc1 .LBB17_60
.LBB17_37:                              ;   Parent Loop BB17_4 Depth=1
                                        ;     Parent Loop BB17_32 Depth=2
                                        ; =>    This Loop Header: Depth=3
                                        ;         Child Loop BB17_40 Depth 4
                                        ;         Child Loop BB17_53 Depth 4
	v_add_u32_e32 v1, s95, v0
	v_cmp_gt_i32_e64 s[8:9], s47, v1
	s_and_saveexec_b64 s[58:59], s[8:9]
	s_cbranch_execz .LBB17_50
; %bb.38:                               ;   in Loop: Header=BB17_37 Depth=3
	v_lshl_add_u32 v1, v1, 1, s94
	v_ashrrev_i32_e32 v2, 31, v1
	v_lshlrev_b64 v[3:4], 3, v[1:2]
	v_mov_b32_e32 v5, s78
	v_add_co_u32_e32 v3, vcc, s77, v3
	v_addc_co_u32_e32 v4, vcc, v5, v4, vcc
	global_load_dwordx4 v[5:8], v[3:4], off
	global_load_dwordx2 v[9:10], v24, s[36:37]
	v_lshlrev_b64 v[1:2], 2, v[1:2]
	v_mov_b32_e32 v3, s80
	v_add_co_u32_e32 v1, vcc, s79, v1
	v_addc_co_u32_e32 v2, vcc, v3, v2, vcc
	global_load_dwordx2 v[3:4], v[1:2], off
	s_andn2_b64 vcc, exec, s[56:57]
	s_waitcnt vmcnt(2)
	v_add_f64 v[11:12], v[5:6], v[7:8]
	s_waitcnt vmcnt(1)
	v_fma_f64 v[1:2], v[11:12], -0.5, v[9:10]
	v_mul_f64 v[9:10], v[11:12], 0.5
	v_cmp_ge_f64_e64 s[10:11], s[18:19], v[1:2]
	v_cndmask_b32_e64 v11, 0, 1, s[10:11]
	s_cbranch_vccnz .LBB17_41
; %bb.39:                               ;   in Loop: Header=BB17_37 Depth=3
	v_cmp_gt_f64_e64 vcc, v[1:2], -s[18:19]
	s_xor_b32 s76, s19, 0x80000000
	v_mov_b32_e32 v12, s18
	v_mov_b32_e32 v29, s76
	s_mov_b64 s[60:61], s[54:55]
	s_mov_b64 s[62:63], s[52:53]
	s_mov_b32 s93, s28
	s_and_b64 vcc, s[10:11], vcc
	v_cndmask_b32_e32 v2, v2, v29, vcc
	v_cndmask_b32_e32 v1, v1, v12, vcc
.LBB17_40:                              ;   Parent Loop BB17_4 Depth=1
                                        ;     Parent Loop BB17_32 Depth=2
                                        ;       Parent Loop BB17_37 Depth=3
                                        ; =>      This Inner Loop Header: Depth=4
	global_load_dwordx2 v[29:30], v24, s[60:61]
	global_load_dwordx2 v[31:32], v24, s[62:63]
	s_add_i32 s93, s93, -1
	v_mov_b32_e32 v12, s76
	s_waitcnt vmcnt(1)
	v_div_scale_f64 v[33:34], s[10:11], v[1:2], v[1:2], v[29:30]
	s_waitcnt vmcnt(0)
	v_add_f64 v[31:32], v[31:32], -v[9:10]
	v_rcp_f64_e32 v[35:36], v[33:34]
	v_fma_f64 v[37:38], -v[33:34], v[35:36], 1.0
	v_fma_f64 v[35:36], v[35:36], v[37:38], v[35:36]
	v_div_scale_f64 v[37:38], vcc, v[29:30], v[1:2], v[29:30]
	v_fma_f64 v[39:40], -v[33:34], v[35:36], 1.0
	v_fma_f64 v[35:36], v[35:36], v[39:40], v[35:36]
	v_mul_f64 v[39:40], v[37:38], v[35:36]
	v_fma_f64 v[33:34], -v[33:34], v[39:40], v[37:38]
	v_div_fmas_f64 v[33:34], v[33:34], v[35:36], v[39:40]
	v_div_fixup_f64 v[1:2], v[33:34], v[1:2], v[29:30]
	v_mov_b32_e32 v29, s18
	v_add_f64 v[1:2], v[31:32], -v[1:2]
	v_cmp_ge_f64_e32 vcc, s[18:19], v[1:2]
	v_cmp_gt_f64_e64 s[38:39], v[1:2], -s[18:19]
	v_addc_co_u32_e64 v11, s[10:11], 0, v11, vcc
	s_and_b64 vcc, vcc, s[38:39]
	s_add_u32 s62, s62, 8
	s_addc_u32 s63, s63, 0
	s_add_u32 s60, s60, 8
	s_addc_u32 s61, s61, 0
	v_cndmask_b32_e32 v2, v2, v12, vcc
	s_cmp_lg_u32 s93, 0
	v_cndmask_b32_e32 v1, v1, v29, vcc
	s_cbranch_scc1 .LBB17_40
.LBB17_41:                              ;   in Loop: Header=BB17_37 Depth=3
	s_waitcnt vmcnt(0)
	v_max_i32_e32 v1, v11, v3
	v_min_i32_e32 v2, v1, v4
	v_cmp_ne_u32_e32 vcc, v2, v3
	s_and_saveexec_b64 s[10:11], vcc
	s_xor_b64 s[10:11], exec, s[10:11]
	s_cbranch_execz .LBB17_47
; %bb.42:                               ;   in Loop: Header=BB17_37 Depth=3
	v_cmp_le_i32_e32 vcc, v4, v1
	s_and_saveexec_b64 s[38:39], vcc
	s_xor_b64 s[60:61], exec, s[38:39]
	s_cbranch_execz .LBB17_44
; %bb.43:                               ;   in Loop: Header=BB17_37 Depth=3
	v_mov_b32_e32 v7, v9
	v_mov_b32_e32 v8, v10
	v_mov_b32_e32 v1, v3
	ds_write_b32 v25, v24
	ds_write_b128 v23, v[5:8]
	ds_write_b64 v26, v[1:2]
                                        ; implicit-def: $vgpr5_vgpr6
                                        ; implicit-def: $vgpr9_vgpr10
.LBB17_44:                              ;   in Loop: Header=BB17_37 Depth=3
	s_andn2_saveexec_b64 s[60:61], s[60:61]
	s_cbranch_execz .LBB17_46
; %bb.45:                               ;   in Loop: Header=BB17_37 Depth=3
	v_mov_b32_e32 v29, v5
	v_mov_b32_e32 v30, v6
	;; [unrolled: 1-line block ×8, first 2 shown]
	ds_write_b32 v25, v27
	ds_write_b128 v23, v[29:32]
	ds_write_b128 v23, v[9:12] offset:16
	ds_write_b128 v26, v[1:4]
.LBB17_46:                              ;   in Loop: Header=BB17_37 Depth=3
	s_or_b64 exec, exec, s[60:61]
                                        ; implicit-def: $vgpr9_vgpr10
                                        ; implicit-def: $vgpr7_vgpr8
.LBB17_47:                              ;   in Loop: Header=BB17_37 Depth=3
	s_andn2_saveexec_b64 s[10:11], s[10:11]
	s_cbranch_execz .LBB17_49
; %bb.48:                               ;   in Loop: Header=BB17_37 Depth=3
	v_mov_b32_e32 v11, v7
	v_mov_b32_e32 v12, v8
	ds_write_b32 v25, v24
	ds_write_b128 v23, v[9:12]
	ds_write_b64 v26, v[3:4]
.LBB17_49:                              ;   in Loop: Header=BB17_37 Depth=3
	s_or_b64 exec, exec, s[10:11]
.LBB17_50:                              ;   in Loop: Header=BB17_37 Depth=3
	s_or_b64 exec, exec, s[58:59]
	s_waitcnt lgkmcnt(0)
	s_barrier
	s_and_saveexec_b64 s[10:11], s[8:9]
	s_cbranch_execz .LBB17_58
; %bb.51:                               ;   in Loop: Header=BB17_37 Depth=3
	v_mov_b32_e32 v4, 0
	s_and_saveexec_b64 s[8:9], s[2:3]
	s_cbranch_execz .LBB17_55
; %bb.52:                               ;   in Loop: Header=BB17_37 Depth=3
	s_movk_i32 s29, 0x1800
	s_mov_b64 s[58:59], 0
	v_mov_b32_e32 v4, 0
	v_mov_b32_e32 v1, v0
.LBB17_53:                              ;   Parent Loop BB17_4 Depth=1
                                        ;     Parent Loop BB17_32 Depth=2
                                        ;       Parent Loop BB17_37 Depth=3
                                        ; =>      This Inner Loop Header: Depth=4
	v_mov_b32_e32 v2, s29
	ds_read_b32 v2, v2
	v_add_u32_e32 v1, -1, v1
	s_add_i32 s29, s29, 4
	v_cmp_eq_u32_e32 vcc, 0, v1
	s_or_b64 s[58:59], vcc, s[58:59]
	s_waitcnt lgkmcnt(0)
	v_add_u32_e32 v4, v2, v4
	s_andn2_b64 exec, exec, s[58:59]
	s_cbranch_execnz .LBB17_53
; %bb.54:                               ;   in Loop: Header=BB17_37 Depth=3
	s_or_b64 exec, exec, s[58:59]
.LBB17_55:                              ;   in Loop: Header=BB17_37 Depth=3
	s_or_b64 exec, exec, s[8:9]
	ds_read_b32 v1, v24 offset:6656
	ds_read_b64 v[11:12], v26
	ds_read_b128 v[7:10], v23
	ds_read_b32 v29, v25
	v_mov_b32_e32 v3, s78
	s_waitcnt lgkmcnt(3)
	v_add3_u32 v1, v4, v0, v1
	v_lshl_add_u32 v5, v1, 1, s90
	v_ashrrev_i32_e32 v6, 31, v5
	v_lshlrev_b64 v[1:2], 3, v[5:6]
	v_lshlrev_b64 v[5:6], 2, v[5:6]
	v_add_co_u32_e32 v1, vcc, s77, v1
	v_addc_co_u32_e32 v2, vcc, v3, v2, vcc
	v_mov_b32_e32 v3, s80
	v_add_co_u32_e32 v5, vcc, s79, v5
	v_addc_co_u32_e32 v6, vcc, v3, v6, vcc
	s_waitcnt lgkmcnt(0)
	v_cmp_ne_u32_e32 vcc, 0, v29
	global_store_dwordx4 v[1:2], v[7:10], off
	global_store_dwordx2 v[5:6], v[11:12], off
	s_and_saveexec_b64 s[8:9], vcc
	s_cbranch_execz .LBB17_57
; %bb.56:                               ;   in Loop: Header=BB17_37 Depth=3
	ds_read_b128 v[7:10], v23 offset:16
	ds_read_b64 v[11:12], v26 offset:8
	s_waitcnt lgkmcnt(1)
	global_store_dwordx4 v[1:2], v[7:10], off offset:16
	s_waitcnt lgkmcnt(0)
	global_store_dwordx2 v[5:6], v[11:12], off offset:8
.LBB17_57:                              ;   in Loop: Header=BB17_37 Depth=3
	s_or_b64 exec, exec, s[8:9]
.LBB17_58:                              ;   in Loop: Header=BB17_37 Depth=3
	s_or_b64 exec, exec, s[10:11]
	s_sub_i32 s8, s47, s95
	s_min_i32 s10, s8, 0x80
	s_add_i32 s8, s10, -1
	v_cmp_eq_u32_e32 vcc, s8, v0
	s_waitcnt vmcnt(0)
	s_barrier
	s_and_saveexec_b64 s[8:9], vcc
	s_cbranch_execz .LBB17_36
; %bb.59:                               ;   in Loop: Header=BB17_37 Depth=3
	ds_read_b32 v1, v25
	ds_read_b32 v2, v24 offset:6656
	v_add_u32_e32 v3, s10, v4
	s_waitcnt lgkmcnt(0)
	v_add3_u32 v1, v3, v1, v2
	ds_write_b32 v24, v1 offset:6656
	s_branch .LBB17_36
.LBB17_60:                              ;   in Loop: Header=BB17_32 Depth=2
	ds_read_b32 v1, v24 offset:6656
	s_waitcnt lgkmcnt(0)
	v_readfirstlane_b32 s47, v1
	s_and_saveexec_b64 s[8:9], s[0:1]
	s_cbranch_execz .LBB17_31
; %bb.61:                               ;   in Loop: Header=BB17_32 Depth=2
	ds_read_b128 v[5:8], v24
	s_waitcnt lgkmcnt(0)
	v_cmp_lt_f64_e64 vcc, |v[5:6]|, |v[7:8]|
	v_cndmask_b32_e32 v2, v6, v8, vcc
	v_cndmask_b32_e32 v1, v5, v7, vcc
	v_mul_f64 v[1:2], v[15:16], |v[1:2]|
	v_add_f64 v[5:6], v[7:8], -v[5:6]
	v_cmp_lt_f64_e32 vcc, v[19:20], v[1:2]
	v_cndmask_b32_e32 v2, v20, v2, vcc
	v_cndmask_b32_e32 v1, v19, v1, vcc
	v_cmp_nlt_f64_e32 vcc, v[5:6], v[1:2]
	s_cbranch_vccnz .LBB17_31
; %bb.62:                               ;   in Loop: Header=BB17_32 Depth=2
	ds_write_b8 v24, v27 offset:6661
	s_branch .LBB17_31
.LBB17_63:                              ;   in Loop: Header=BB17_4 Depth=1
                                        ; implicit-def: $sgpr27
                                        ; implicit-def: $sgpr90
                                        ; implicit-def: $sgpr7
                                        ; implicit-def: $sgpr47
                                        ; implicit-def: $vgpr4
	s_cbranch_execz .LBB17_3
	s_branch .LBB17_77
.LBB17_64:                              ;   in Loop: Header=BB17_4 Depth=1
	s_mov_b32 s90, s87
.LBB17_65:                              ;   in Loop: Header=BB17_4 Depth=1
	s_and_b64 s[28:29], s[0:1], s[58:59]
	s_and_saveexec_b64 s[10:11], s[28:29]
	s_cbranch_execz .LBB17_76
; %bb.66:                               ;   in Loop: Header=BB17_4 Depth=1
	s_cmp_lt_i32 s47, 1
	s_cbranch_scc1 .LBB17_74
; %bb.67:                               ;   in Loop: Header=BB17_4 Depth=1
	s_add_i32 s36, s6, 1
	s_not_b32 s37, s6
	s_and_b64 s[28:29], s[8:9], exec
	s_cselect_b32 s54, s36, s37
	s_mov_b32 s55, 0
	s_mov_b32 s56, 0
	s_branch .LBB17_69
.LBB17_68:                              ;   in Loop: Header=BB17_69 Depth=2
	s_add_i32 s55, s55, 1
	s_cmp_eq_u32 s55, s47
	s_cbranch_scc1 .LBB17_73
.LBB17_69:                              ;   Parent Loop BB17_4 Depth=1
                                        ; =>  This Loop Header: Depth=2
                                        ;       Child Loop BB17_71 Depth 3
	s_lshl_b32 s28, s55, 1
	s_add_i32 s36, s28, s90
	s_ashr_i32 s37, s36, 31
	s_lshl_b64 s[28:29], s[36:37], 2
	s_add_u32 s28, s79, s28
	s_addc_u32 s29, s80, s29
	global_load_dwordx2 v[1:2], v24, s[28:29]
	s_waitcnt vmcnt(0)
	v_readfirstlane_b32 s28, v1
	v_readfirstlane_b32 s57, v2
	s_sub_i32 s28, s57, s28
	s_cmp_lt_i32 s28, 1
	s_cbranch_scc1 .LBB17_68
; %bb.70:                               ;   in Loop: Header=BB17_69 Depth=2
	s_lshl_b64 s[36:37], s[36:37], 3
	s_add_u32 s36, s77, s36
	s_addc_u32 s37, s78, s37
	global_load_dwordx4 v[1:4], v24, s[36:37]
	s_add_i32 s38, s26, s56
	s_ashr_i32 s39, s38, 31
	s_lshl_b64 s[36:37], s[38:39], 3
	s_add_u32 s36, s68, s36
	s_addc_u32 s37, s69, s37
	s_lshl_b64 s[38:39], s[38:39], 2
	s_add_u32 s52, s70, s38
	s_addc_u32 s53, s71, s39
	s_mov_b32 s29, 0
	s_waitcnt vmcnt(0)
	v_add_f64 v[1:2], v[1:2], v[3:4]
	v_mul_f64 v[1:2], v[1:2], 0.5
.LBB17_71:                              ;   Parent Loop BB17_4 Depth=1
                                        ;     Parent Loop BB17_69 Depth=2
                                        ; =>    This Inner Loop Header: Depth=3
	s_add_i32 s29, s29, 1
	global_store_dwordx2 v24, v[1:2], s[36:37]
	s_add_u32 s36, s36, 8
	v_mov_b32_e32 v3, s54
	s_addc_u32 s37, s37, 0
	global_store_dword v24, v3, s[52:53]
	s_add_u32 s52, s52, 4
	s_addc_u32 s53, s53, 0
	s_cmp_ge_i32 s29, s28
	s_cbranch_scc0 .LBB17_71
; %bb.72:                               ;   in Loop: Header=BB17_69 Depth=2
	s_add_i32 s56, s56, s29
	s_branch .LBB17_68
.LBB17_73:                              ;   in Loop: Header=BB17_4 Depth=1
	v_mov_b32_e32 v4, s57
.LBB17_74:                              ;   in Loop: Header=BB17_4 Depth=1
	s_xor_b64 s[8:9], s[8:9], -1
	s_and_b64 vcc, exec, s[8:9]
	s_cbranch_vccz .LBB17_76
; %bb.75:                               ;   in Loop: Header=BB17_4 Depth=1
	global_store_dword v24, v27, s[14:15]
.LBB17_76:                              ;   in Loop: Header=BB17_4 Depth=1
	s_or_b64 exec, exec, s[10:11]
	s_branch .LBB17_3
.LBB17_77:                              ;   in Loop: Header=BB17_4 Depth=1
	s_and_saveexec_b64 s[8:9], s[0:1]
	s_cbranch_execz .LBB17_2
; %bb.78:                               ;   in Loop: Header=BB17_4 Depth=1
	s_ashr_i32 s27, s26, 31
	s_lshl_b64 s[10:11], s[26:27], 3
	s_add_u32 s28, s64, s10
	s_addc_u32 s29, s65, s11
	global_load_dwordx2 v[1:2], v24, s[28:29]
	s_andn2_b64 vcc, exec, s[22:23]
	s_mov_b64 s[36:37], -1
	s_cbranch_vccnz .LBB17_83
; %bb.79:                               ;   in Loop: Header=BB17_4 Depth=1
	global_load_dwordx2 v[5:6], v24, s[16:17]
	s_waitcnt vmcnt(1)
	v_add_f64 v[3:4], v[1:2], -s[18:19]
	s_mov_b64 s[36:37], 0
	s_waitcnt vmcnt(0)
	v_cmp_lt_f64_e32 vcc, v[5:6], v[3:4]
	v_cmp_nlt_f64_e64 s[52:53], v[5:6], v[3:4]
	s_cbranch_vccz .LBB17_81
; %bb.80:                               ;   in Loop: Header=BB17_4 Depth=1
	global_load_dwordx2 v[5:6], v24, s[16:17] offset:8
	s_mov_b64 s[36:37], -1
	s_waitcnt vmcnt(0)
	v_cmp_nge_f64_e64 s[52:53], v[5:6], v[3:4]
.LBB17_81:                              ;   in Loop: Header=BB17_4 Depth=1
	s_andn2_b64 vcc, exec, s[52:53]
	s_cbranch_vccnz .LBB17_83
; %bb.82:                               ;   in Loop: Header=BB17_4 Depth=1
	s_add_u32 s28, s81, s30
	s_addc_u32 s29, s82, s31
	global_store_dword v24, v24, s[28:29]
	s_mov_b64 s[36:37], 0
.LBB17_83:                              ;   in Loop: Header=BB17_4 Depth=1
	s_and_b64 vcc, exec, s[36:37]
	s_cbranch_vccz .LBB17_2
; %bb.84:                               ;   in Loop: Header=BB17_4 Depth=1
	s_add_u32 s10, s68, s10
	s_addc_u32 s11, s69, s11
	s_waitcnt vmcnt(0)
	global_store_dwordx2 v24, v[1:2], s[10:11]
	s_add_u32 s10, s81, s30
	s_addc_u32 s11, s82, s31
	global_store_dword v24, v27, s[10:11]
	s_add_i32 s7, s6, 1
	s_lshl_b64 s[10:11], s[26:27], 2
	s_add_u32 s10, s70, s10
	s_addc_u32 s11, s71, s11
	v_mov_b32_e32 v1, s7
	global_store_dword v24, v1, s[10:11]
	s_branch .LBB17_2
.LBB17_85:
	s_endpgm
	.section	.rodata,"a",@progbits
	.p2align	6, 0x0
	.amdhsa_kernel _ZN9rocsolver6v33100L22stebz_bisection_kernelIdPdEEv15rocblas_erange_iT_T0_iiS5_iiPiPS4_lS6_lS6_lS6_S6_S7_S7_S7_S7_S6_S4_S4_
		.amdhsa_group_segment_fixed_size 6664
		.amdhsa_private_segment_fixed_size 0
		.amdhsa_kernarg_size 176
		.amdhsa_user_sgpr_count 6
		.amdhsa_user_sgpr_private_segment_buffer 1
		.amdhsa_user_sgpr_dispatch_ptr 0
		.amdhsa_user_sgpr_queue_ptr 0
		.amdhsa_user_sgpr_kernarg_segment_ptr 1
		.amdhsa_user_sgpr_dispatch_id 0
		.amdhsa_user_sgpr_flat_scratch_init 0
		.amdhsa_user_sgpr_private_segment_size 0
		.amdhsa_uses_dynamic_stack 0
		.amdhsa_system_sgpr_private_segment_wavefront_offset 0
		.amdhsa_system_sgpr_workgroup_id_x 1
		.amdhsa_system_sgpr_workgroup_id_y 1
		.amdhsa_system_sgpr_workgroup_id_z 0
		.amdhsa_system_sgpr_workgroup_info 0
		.amdhsa_system_vgpr_workitem_id 0
		.amdhsa_next_free_vgpr 43
		.amdhsa_next_free_sgpr 98
		.amdhsa_reserve_vcc 1
		.amdhsa_reserve_flat_scratch 0
		.amdhsa_float_round_mode_32 0
		.amdhsa_float_round_mode_16_64 0
		.amdhsa_float_denorm_mode_32 3
		.amdhsa_float_denorm_mode_16_64 3
		.amdhsa_dx10_clamp 1
		.amdhsa_ieee_mode 1
		.amdhsa_fp16_overflow 0
		.amdhsa_exception_fp_ieee_invalid_op 0
		.amdhsa_exception_fp_denorm_src 0
		.amdhsa_exception_fp_ieee_div_zero 0
		.amdhsa_exception_fp_ieee_overflow 0
		.amdhsa_exception_fp_ieee_underflow 0
		.amdhsa_exception_fp_ieee_inexact 0
		.amdhsa_exception_int_div_zero 0
	.end_amdhsa_kernel
	.section	.text._ZN9rocsolver6v33100L22stebz_bisection_kernelIdPdEEv15rocblas_erange_iT_T0_iiS5_iiPiPS4_lS6_lS6_lS6_S6_S7_S7_S7_S7_S6_S4_S4_,"axG",@progbits,_ZN9rocsolver6v33100L22stebz_bisection_kernelIdPdEEv15rocblas_erange_iT_T0_iiS5_iiPiPS4_lS6_lS6_lS6_S6_S7_S7_S7_S7_S6_S4_S4_,comdat
.Lfunc_end17:
	.size	_ZN9rocsolver6v33100L22stebz_bisection_kernelIdPdEEv15rocblas_erange_iT_T0_iiS5_iiPiPS4_lS6_lS6_lS6_S6_S7_S7_S7_S7_S6_S4_S4_, .Lfunc_end17-_ZN9rocsolver6v33100L22stebz_bisection_kernelIdPdEEv15rocblas_erange_iT_T0_iiS5_iiPiPS4_lS6_lS6_lS6_S6_S7_S7_S7_S7_S6_S4_S4_
                                        ; -- End function
	.set _ZN9rocsolver6v33100L22stebz_bisection_kernelIdPdEEv15rocblas_erange_iT_T0_iiS5_iiPiPS4_lS6_lS6_lS6_S6_S7_S7_S7_S7_S6_S4_S4_.num_vgpr, 43
	.set _ZN9rocsolver6v33100L22stebz_bisection_kernelIdPdEEv15rocblas_erange_iT_T0_iiS5_iiPiPS4_lS6_lS6_lS6_S6_S7_S7_S7_S7_S6_S4_S4_.num_agpr, 0
	.set _ZN9rocsolver6v33100L22stebz_bisection_kernelIdPdEEv15rocblas_erange_iT_T0_iiS5_iiPiPS4_lS6_lS6_lS6_S6_S7_S7_S7_S7_S6_S4_S4_.numbered_sgpr, 96
	.set _ZN9rocsolver6v33100L22stebz_bisection_kernelIdPdEEv15rocblas_erange_iT_T0_iiS5_iiPiPS4_lS6_lS6_lS6_S6_S7_S7_S7_S7_S6_S4_S4_.num_named_barrier, 0
	.set _ZN9rocsolver6v33100L22stebz_bisection_kernelIdPdEEv15rocblas_erange_iT_T0_iiS5_iiPiPS4_lS6_lS6_lS6_S6_S7_S7_S7_S7_S6_S4_S4_.private_seg_size, 0
	.set _ZN9rocsolver6v33100L22stebz_bisection_kernelIdPdEEv15rocblas_erange_iT_T0_iiS5_iiPiPS4_lS6_lS6_lS6_S6_S7_S7_S7_S7_S6_S4_S4_.uses_vcc, 1
	.set _ZN9rocsolver6v33100L22stebz_bisection_kernelIdPdEEv15rocblas_erange_iT_T0_iiS5_iiPiPS4_lS6_lS6_lS6_S6_S7_S7_S7_S7_S6_S4_S4_.uses_flat_scratch, 0
	.set _ZN9rocsolver6v33100L22stebz_bisection_kernelIdPdEEv15rocblas_erange_iT_T0_iiS5_iiPiPS4_lS6_lS6_lS6_S6_S7_S7_S7_S7_S6_S4_S4_.has_dyn_sized_stack, 0
	.set _ZN9rocsolver6v33100L22stebz_bisection_kernelIdPdEEv15rocblas_erange_iT_T0_iiS5_iiPiPS4_lS6_lS6_lS6_S6_S7_S7_S7_S7_S6_S4_S4_.has_recursion, 0
	.set _ZN9rocsolver6v33100L22stebz_bisection_kernelIdPdEEv15rocblas_erange_iT_T0_iiS5_iiPiPS4_lS6_lS6_lS6_S6_S7_S7_S7_S7_S6_S4_S4_.has_indirect_call, 0
	.section	.AMDGPU.csdata,"",@progbits
; Kernel info:
; codeLenInByte = 5376
; TotalNumSgprs: 100
; NumVgprs: 43
; ScratchSize: 0
; MemoryBound: 0
; FloatMode: 240
; IeeeMode: 1
; LDSByteSize: 6664 bytes/workgroup (compile time only)
; SGPRBlocks: 12
; VGPRBlocks: 10
; NumSGPRsForWavesPerEU: 102
; NumVGPRsForWavesPerEU: 43
; Occupancy: 5
; WaveLimiterHint : 1
; COMPUTE_PGM_RSRC2:SCRATCH_EN: 0
; COMPUTE_PGM_RSRC2:USER_SGPR: 6
; COMPUTE_PGM_RSRC2:TRAP_HANDLER: 0
; COMPUTE_PGM_RSRC2:TGID_X_EN: 1
; COMPUTE_PGM_RSRC2:TGID_Y_EN: 1
; COMPUTE_PGM_RSRC2:TGID_Z_EN: 0
; COMPUTE_PGM_RSRC2:TIDIG_COMP_CNT: 0
	.section	.text._ZN9rocsolver6v33100L22stebz_synthesis_kernelIdPdEEv15rocblas_erange_15rocblas_eorder_iiiT0_iiPiS6_PT_lS6_lS6_liS6_S8_S8_S8_S8_S6_S7_,"axG",@progbits,_ZN9rocsolver6v33100L22stebz_synthesis_kernelIdPdEEv15rocblas_erange_15rocblas_eorder_iiiT0_iiPiS6_PT_lS6_lS6_liS6_S8_S8_S8_S8_S6_S7_,comdat
	.globl	_ZN9rocsolver6v33100L22stebz_synthesis_kernelIdPdEEv15rocblas_erange_15rocblas_eorder_iiiT0_iiPiS6_PT_lS6_lS6_liS6_S8_S8_S8_S8_S6_S7_ ; -- Begin function _ZN9rocsolver6v33100L22stebz_synthesis_kernelIdPdEEv15rocblas_erange_15rocblas_eorder_iiiT0_iiPiS6_PT_lS6_lS6_liS6_S8_S8_S8_S8_S6_S7_
	.p2align	8
	.type	_ZN9rocsolver6v33100L22stebz_synthesis_kernelIdPdEEv15rocblas_erange_15rocblas_eorder_iiiT0_iiPiS6_PT_lS6_lS6_liS6_S8_S8_S8_S8_S6_S7_,@function
_ZN9rocsolver6v33100L22stebz_synthesis_kernelIdPdEEv15rocblas_erange_15rocblas_eorder_iiiT0_iiPiS6_PT_lS6_lS6_liS6_S8_S8_S8_S8_S6_S7_: ; @_ZN9rocsolver6v33100L22stebz_synthesis_kernelIdPdEEv15rocblas_erange_15rocblas_eorder_iiiT0_iiPiS6_PT_lS6_lS6_liS6_S8_S8_S8_S8_S6_S7_
; %bb.0:
	s_load_dword s0, s[4:5], 0xb4
	s_load_dword s1, s[4:5], 0x68
	s_waitcnt lgkmcnt(0)
	s_and_b32 s0, s0, 0xffff
	s_mul_i32 s6, s6, s0
	v_add_u32_e32 v4, s6, v0
	v_cmp_gt_i32_e32 vcc, s1, v4
	s_and_saveexec_b64 s[0:1], vcc
	s_cbranch_execz .LBB18_61
; %bb.1:
	s_load_dwordx16 s[8:23], s[4:5], 0x28
	v_ashrrev_i32_e32 v5, 31, v4
	v_lshlrev_b64 v[0:1], 2, v[4:5]
	s_waitcnt lgkmcnt(0)
	v_mov_b32_e32 v3, s11
	v_add_co_u32_e32 v2, vcc, s10, v0
	v_addc_co_u32_e32 v3, vcc, v3, v1, vcc
	global_load_dword v25, v[2:3], off
	v_mul_lo_u32 v10, s15, v4
	v_mul_lo_u32 v11, s14, v5
	v_mad_u64_u32 v[2:3], s[0:1], s14, v4, 0
	v_mul_lo_u32 v13, s19, v4
	v_mul_lo_u32 v15, s18, v5
	v_mad_u64_u32 v[6:7], s[0:1], s18, v4, 0
	s_load_dwordx4 s[36:39], s[4:5], 0x0
	s_load_dword s33, s[4:5], 0x10
	s_load_dwordx8 s[24:31], s[4:5], 0x70
	v_mul_lo_u32 v17, s23, v4
	v_mul_lo_u32 v18, s22, v5
	v_mad_u64_u32 v[8:9], s[0:1], s22, v4, 0
	v_add3_u32 v3, v3, v11, v10
	v_lshlrev_b64 v[2:3], 3, v[2:3]
	s_waitcnt lgkmcnt(0)
	v_mul_lo_u32 v12, v4, s38
	v_add3_u32 v7, v7, v15, v13
	v_mov_b32_e32 v14, s13
	v_lshlrev_b64 v[10:11], 2, v[6:7]
	v_add_co_u32_e32 v28, vcc, s12, v2
	v_add3_u32 v9, v9, v18, v17
	v_addc_co_u32_e32 v29, vcc, v14, v3, vcc
	v_mov_b32_e32 v16, s17
	v_lshlrev_b64 v[6:7], 2, v[8:9]
	v_add_co_u32_e32 v30, vcc, s16, v10
	v_ashrrev_i32_e32 v13, 31, v12
	v_addc_co_u32_e32 v31, vcc, v16, v11, vcc
	v_mov_b32_e32 v19, s21
	v_lshlrev_b64 v[8:9], 2, v[12:13]
	v_add_co_u32_e32 v27, vcc, s20, v6
	v_addc_co_u32_e32 v33, vcc, v19, v7, vcc
	v_mov_b32_e32 v20, s25
	v_add_co_u32_e32 v26, vcc, s24, v8
	v_addc_co_u32_e32 v32, vcc, v20, v9, vcc
	s_cmpk_eq_i32 s36, 0xe9
	s_waitcnt vmcnt(0)
	v_cmp_lt_i32_e32 vcc, 0, v25
	v_cmp_gt_i32_e64 s[0:1], 1, v25
	s_cbranch_scc1 .LBB18_12
; %bb.2:
	v_mov_b32_e32 v8, 0
	s_and_saveexec_b64 s[6:7], vcc
	s_cbranch_execz .LBB18_14
; %bb.3:
	v_mov_b32_e32 v6, s13
	v_add_co_u32_e32 v20, vcc, s12, v2
	v_addc_co_u32_e32 v21, vcc, v6, v3, vcc
	v_mov_b32_e32 v6, s17
	v_add_co_u32_e32 v22, vcc, s16, v10
	s_mov_b32 s15, 0
	v_addc_co_u32_e32 v23, vcc, v6, v11, vcc
	s_mov_b64 s[10:11], 0
	v_mov_b32_e32 v8, 0
	s_mov_b32 s14, s15
	s_branch .LBB18_5
.LBB18_4:                               ;   in Loop: Header=BB18_5 Depth=1
	s_or_b64 exec, exec, s[18:19]
	s_add_i32 s14, s14, 1
	v_cmp_eq_u32_e32 vcc, s14, v25
	s_or_b64 s[10:11], vcc, s[10:11]
	s_andn2_b64 exec, exec, s[10:11]
	s_cbranch_execz .LBB18_13
.LBB18_5:                               ; =>This Loop Header: Depth=1
                                        ;     Child Loop BB18_10 Depth 2
	s_cmp_eq_u32 s14, 0
	s_cbranch_scc1 .LBB18_7
; %bb.6:                                ;   in Loop: Header=BB18_5 Depth=1
	s_lshl_b64 s[2:3], s[14:15], 2
	v_mov_b32_e32 v7, s3
	v_add_co_u32_e32 v6, vcc, s2, v27
	v_addc_co_u32_e32 v7, vcc, v33, v7, vcc
	global_load_dword v14, v[6:7], off offset:-4
	s_mov_b64 s[2:3], s[14:15]
	s_branch .LBB18_8
.LBB18_7:                               ;   in Loop: Header=BB18_5 Depth=1
	v_mov_b32_e32 v14, 0
	s_mov_b64 s[2:3], 0
.LBB18_8:                               ;   in Loop: Header=BB18_5 Depth=1
	s_lshl_b64 s[2:3], s[2:3], 2
	v_mov_b32_e32 v7, s3
	v_add_co_u32_e32 v6, vcc, s2, v26
	v_addc_co_u32_e32 v7, vcc, v32, v7, vcc
	global_load_dword v9, v[6:7], off
	s_waitcnt vmcnt(0)
	v_cmp_lt_i32_e32 vcc, 0, v9
	s_and_saveexec_b64 s[18:19], vcc
	s_cbranch_execz .LBB18_4
; %bb.9:                                ;   in Loop: Header=BB18_5 Depth=1
	v_ashrrev_i32_e32 v15, 31, v14
	v_lshlrev_b64 v[12:13], 3, v[14:15]
	v_lshlrev_b64 v[14:15], 2, v[14:15]
	v_add_co_u32_e32 v12, vcc, v20, v12
	v_addc_co_u32_e32 v13, vcc, v21, v13, vcc
	v_ashrrev_i32_e32 v9, 31, v8
	v_add_co_u32_e32 v14, vcc, v22, v14
	v_lshlrev_b64 v[16:17], 3, v[8:9]
	v_addc_co_u32_e32 v15, vcc, v23, v15, vcc
	v_add_co_u32_e32 v16, vcc, v20, v16
	v_lshlrev_b64 v[18:19], 2, v[8:9]
	v_addc_co_u32_e32 v17, vcc, v21, v17, vcc
	v_add_co_u32_e32 v18, vcc, v22, v18
	v_addc_co_u32_e32 v19, vcc, v23, v19, vcc
	s_mov_b32 s22, 0
	s_mov_b64 s[20:21], 0
.LBB18_10:                              ;   Parent Loop BB18_5 Depth=1
                                        ; =>  This Inner Loop Header: Depth=2
	global_load_dword v9, v[14:15], off
	s_add_i32 s22, s22, 1
	s_waitcnt vmcnt(0)
	global_store_dword v[18:19], v9, off
	global_load_dword v24, v[6:7], off
	global_load_dwordx2 v[34:35], v[12:13], off
	v_add_co_u32_e32 v12, vcc, 8, v12
	v_addc_co_u32_e32 v13, vcc, 0, v13, vcc
	v_add_co_u32_e32 v14, vcc, 4, v14
	v_addc_co_u32_e32 v15, vcc, 0, v15, vcc
	v_add_u32_e32 v9, s22, v8
	s_waitcnt vmcnt(1)
	v_cmp_ge_i32_e64 s[2:3], s22, v24
	s_waitcnt vmcnt(0)
	global_store_dwordx2 v[16:17], v[34:35], off
	v_add_co_u32_e32 v16, vcc, 8, v16
	v_addc_co_u32_e32 v17, vcc, 0, v17, vcc
	v_add_co_u32_e32 v18, vcc, 4, v18
	s_or_b64 s[20:21], s[2:3], s[20:21]
	v_addc_co_u32_e32 v19, vcc, 0, v19, vcc
	s_andn2_b64 exec, exec, s[20:21]
	s_cbranch_execnz .LBB18_10
; %bb.11:                               ;   in Loop: Header=BB18_5 Depth=1
	s_or_b64 exec, exec, s[20:21]
	v_mov_b32_e32 v8, v9
	s_branch .LBB18_4
.LBB18_12:
                                        ; implicit-def: $vgpr8
	s_branch .LBB18_15
.LBB18_13:
	s_or_b64 exec, exec, s[10:11]
.LBB18_14:
	s_or_b64 exec, exec, s[6:7]
	s_cbranch_execnz .LBB18_53
.LBB18_15:
	v_lshlrev_b64 v[5:6], 3, v[4:5]
	v_mov_b32_e32 v7, s27
	v_add_co_u32_e32 v5, vcc, s26, v5
	v_addc_co_u32_e32 v6, vcc, v7, v6, vcc
	global_load_dwordx2 v[5:6], v[5:6], off
	v_lshlrev_b32_e32 v12, 1, v4
	s_load_dwordx4 s[20:23], s[4:5], 0x90
	v_mul_lo_u32 v8, v12, s38
                                        ; implicit-def: $sgpr6_sgpr7
	v_ashrrev_i32_e32 v9, 31, v8
	s_and_saveexec_b64 s[2:3], s[0:1]
	s_xor_b64 s[0:1], exec, s[2:3]
; %bb.16:
	s_ashr_i32 s7, s38, 31
	s_mov_b32 s6, s38
                                        ; implicit-def: $vgpr25
                                        ; implicit-def: $vgpr26
                                        ; implicit-def: $vgpr32
                                        ; implicit-def: $vgpr27
                                        ; implicit-def: $vgpr33
                                        ; implicit-def: $vgpr10_vgpr11
; %bb.17:
	s_or_saveexec_b64 s[2:3], s[0:1]
	v_lshlrev_b64 v[13:14], 3, v[8:9]
	v_lshlrev_b64 v[15:16], 2, v[8:9]
	v_mov_b32_e32 v9, s7
	v_mov_b32_e32 v7, 0
	;; [unrolled: 1-line block ×3, first 2 shown]
	s_xor_b64 exec, exec, s[2:3]
	s_cbranch_execz .LBB18_28
; %bb.18:
	v_mov_b32_e32 v7, s13
	v_add_co_u32_e32 v34, vcc, s12, v2
	v_addc_co_u32_e32 v35, vcc, v7, v3, vcc
	v_mov_b32_e32 v7, s17
	v_add_co_u32_e32 v36, vcc, s16, v10
	v_addc_co_u32_e32 v11, vcc, v7, v11, vcc
	s_waitcnt lgkmcnt(0)
	v_mov_b32_e32 v7, s21
	v_add_co_u32_e32 v37, vcc, s20, v13
	v_addc_co_u32_e32 v38, vcc, v7, v14, vcc
	s_ashr_i32 s7, s38, 31
	s_mov_b32 s6, s38
	v_mov_b32_e32 v7, s23
	v_add_co_u32_e32 v39, vcc, s22, v15
	s_mov_b32 s19, 0
	s_lshl_b64 s[10:11], s[6:7], 3
	v_addc_co_u32_e32 v40, vcc, v7, v16, vcc
	s_mov_b64 s[14:15], 0
	v_mov_b32_e32 v7, 0
	s_mov_b32 s18, s19
	s_branch .LBB18_20
.LBB18_19:                              ;   in Loop: Header=BB18_20 Depth=1
	s_or_b64 exec, exec, s[24:25]
	s_add_i32 s18, s18, 1
	v_cmp_eq_u32_e32 vcc, s18, v25
	s_or_b64 s[14:15], vcc, s[14:15]
	s_andn2_b64 exec, exec, s[14:15]
	s_cbranch_execz .LBB18_27
.LBB18_20:                              ; =>This Loop Header: Depth=1
                                        ;     Child Loop BB18_25 Depth 2
	s_cmp_eq_u32 s18, 0
	s_cbranch_scc1 .LBB18_22
; %bb.21:                               ;   in Loop: Header=BB18_20 Depth=1
	s_lshl_b64 s[0:1], s[18:19], 2
	v_mov_b32_e32 v9, s1
	v_add_co_u32_e32 v8, vcc, s0, v27
	v_addc_co_u32_e32 v9, vcc, v33, v9, vcc
	global_load_dword v19, v[8:9], off offset:-4
	s_mov_b64 s[0:1], s[18:19]
	s_branch .LBB18_23
.LBB18_22:                              ;   in Loop: Header=BB18_20 Depth=1
	v_mov_b32_e32 v19, 0
	s_mov_b64 s[0:1], 0
.LBB18_23:                              ;   in Loop: Header=BB18_20 Depth=1
	s_lshl_b64 s[0:1], s[0:1], 2
	v_mov_b32_e32 v8, s1
	v_add_co_u32_e32 v9, vcc, s0, v26
	v_addc_co_u32_e32 v10, vcc, v32, v8, vcc
	global_load_dword v8, v[9:10], off
	s_waitcnt vmcnt(0)
	v_cmp_lt_i32_e32 vcc, 0, v8
	s_and_saveexec_b64 s[24:25], vcc
	s_cbranch_execz .LBB18_19
; %bb.24:                               ;   in Loop: Header=BB18_20 Depth=1
	v_ashrrev_i32_e32 v20, 31, v19
	v_lshlrev_b64 v[17:18], 3, v[19:20]
	v_lshlrev_b64 v[19:20], 2, v[19:20]
	v_add_co_u32_e32 v17, vcc, v34, v17
	v_addc_co_u32_e32 v18, vcc, v35, v18, vcc
	v_ashrrev_i32_e32 v8, 31, v7
	v_add_co_u32_e32 v19, vcc, v36, v19
	v_lshlrev_b64 v[21:22], 3, v[7:8]
	v_addc_co_u32_e32 v20, vcc, v11, v20, vcc
	v_add_co_u32_e32 v21, vcc, v37, v21
	v_lshlrev_b64 v[23:24], 2, v[7:8]
	v_addc_co_u32_e32 v22, vcc, v38, v22, vcc
	v_add_co_u32_e32 v23, vcc, v39, v23
	v_addc_co_u32_e32 v24, vcc, v40, v24, vcc
	s_mov_b32 s34, 0
	s_mov_b64 s[26:27], 0
.LBB18_25:                              ;   Parent Loop BB18_20 Depth=1
                                        ; =>  This Inner Loop Header: Depth=2
	global_load_dword v8, v[19:20], off
	s_add_i32 s34, s34, 1
	s_waitcnt vmcnt(0)
	global_store_dword v[23:24], v8, off
	global_load_dword v45, v[9:10], off
	global_load_dwordx2 v[41:42], v[17:18], off
	v_add_co_u32_e32 v17, vcc, 8, v17
	v_addc_co_u32_e32 v18, vcc, 0, v18, vcc
	v_add_co_u32_e32 v19, vcc, 4, v19
	v_addc_co_u32_e32 v20, vcc, 0, v20, vcc
	v_mov_b32_e32 v8, s11
	v_add_co_u32_e32 v43, vcc, s10, v21
	v_addc_co_u32_e32 v44, vcc, v22, v8, vcc
	v_add_u32_e32 v8, s34, v7
	s_waitcnt vmcnt(0)
	global_store_dwordx2 v[21:22], v[41:42], off
	global_store_dwordx2 v[43:44], v[41:42], off
	v_add_co_u32_e32 v21, vcc, 8, v21
	v_addc_co_u32_e32 v22, vcc, 0, v22, vcc
	v_add_co_u32_e32 v23, vcc, 4, v23
	v_cmp_ge_i32_e64 s[0:1], s34, v45
	s_or_b64 s[26:27], s[0:1], s[26:27]
	v_addc_co_u32_e32 v24, vcc, 0, v24, vcc
	s_andn2_b64 exec, exec, s[26:27]
	s_cbranch_execnz .LBB18_25
; %bb.26:                               ;   in Loop: Header=BB18_20 Depth=1
	s_or_b64 exec, exec, s[26:27]
	v_mov_b32_e32 v7, v8
	s_branch .LBB18_19
.LBB18_27:
	s_or_b64 exec, exec, s[14:15]
	v_mov_b32_e32 v9, s7
	v_mov_b32_e32 v8, s6
.LBB18_28:
	s_or_b64 exec, exec, s[2:3]
; %bb.29:
	s_waitcnt lgkmcnt(0)
	v_mov_b32_e32 v10, s21
	v_add_co_u32_e32 v32, vcc, s20, v13
	v_addc_co_u32_e32 v33, vcc, v10, v14, vcc
	v_mov_b32_e32 v10, s23
	v_add_co_u32_e32 v34, vcc, s22, v15
	v_addc_co_u32_e32 v35, vcc, v10, v16, vcc
	v_lshlrev_b64 v[15:16], 3, v[8:9]
	s_mov_b32 s2, 1
	v_add_co_u32_e32 v10, vcc, v32, v15
	v_addc_co_u32_e32 v11, vcc, v33, v16, vcc
	v_cmp_lt_i32_e32 vcc, 1, v7
	s_and_saveexec_b64 s[6:7], vcc
	s_cbranch_execz .LBB18_37
; %bb.30:
	v_lshlrev_b64 v[8:9], 2, v[8:9]
	s_cmp_lg_u64 s[22:23], 0
	v_add_co_u32_e32 v23, vcc, v34, v8
	v_addc_co_u32_e32 v24, vcc, v35, v9, vcc
	v_add_co_u32_e32 v8, vcc, v15, v13
	v_addc_co_u32_e32 v9, vcc, v16, v14, vcc
	v_mov_b32_e32 v13, s21
	v_add_co_u32_e32 v8, vcc, s20, v8
	v_addc_co_u32_e32 v9, vcc, v13, v9, vcc
	v_add_co_u32_e32 v8, vcc, 8, v8
	s_mov_b64 s[10:11], 0
	s_cselect_b64 s[14:15], -1, 0
	v_addc_co_u32_e32 v9, vcc, 0, v9, vcc
	s_branch .LBB18_32
.LBB18_31:                              ;   in Loop: Header=BB18_32 Depth=1
	s_or_b64 exec, exec, s[0:1]
	s_add_i32 s2, s2, 1
	v_cmp_eq_u32_e32 vcc, s2, v7
	s_or_b64 s[10:11], vcc, s[10:11]
	v_add_co_u32_e32 v8, vcc, 8, v8
	v_addc_co_u32_e32 v9, vcc, 0, v9, vcc
	s_andn2_b64 exec, exec, s[10:11]
	s_cbranch_execz .LBB18_37
.LBB18_32:                              ; =>This Loop Header: Depth=1
                                        ;     Child Loop BB18_33 Depth 2
	s_ashr_i32 s3, s2, 31
	s_lshl_b64 s[0:1], s[2:3], 3
	v_mov_b32_e32 v13, s1
	v_add_co_u32_e32 v15, vcc, s0, v10
	v_addc_co_u32_e32 v16, vcc, v11, v13, vcc
	global_load_dwordx2 v[17:18], v[15:16], off offset:-8
	s_add_i32 s20, s2, -1
	v_mov_b32_e32 v22, v9
	v_mov_b32_e32 v13, s20
	s_mov_b64 s[18:19], 0
	v_mov_b32_e32 v21, v8
	s_mov_b32 s21, s2
	s_waitcnt vmcnt(0)
	v_mov_b32_e32 v20, v18
	v_mov_b32_e32 v19, v17
.LBB18_33:                              ;   Parent Loop BB18_32 Depth=1
                                        ; =>  This Inner Loop Header: Depth=2
	global_load_dwordx2 v[25:26], v[21:22], off
	v_add_co_u32_e64 v21, s[0:1], 8, v21
	v_mov_b32_e32 v14, s21
	s_add_i32 s21, s21, 1
	v_addc_co_u32_e64 v22, s[0:1], 0, v22, s[0:1]
	v_cmp_eq_u32_e64 s[0:1], s21, v7
	s_or_b64 s[18:19], s[0:1], s[18:19]
	s_waitcnt vmcnt(0)
	v_cmp_lt_f64_e32 vcc, v[25:26], v[19:20]
	v_cndmask_b32_e32 v20, v20, v26, vcc
	v_cndmask_b32_e32 v19, v19, v25, vcc
	;; [unrolled: 1-line block ×3, first 2 shown]
	s_andn2_b64 exec, exec, s[18:19]
	s_cbranch_execnz .LBB18_33
; %bb.34:                               ;   in Loop: Header=BB18_32 Depth=1
	s_or_b64 exec, exec, s[18:19]
	v_cmp_ne_u32_e32 vcc, s20, v13
	s_and_saveexec_b64 s[0:1], vcc
	s_cbranch_execz .LBB18_31
; %bb.35:                               ;   in Loop: Header=BB18_32 Depth=1
	v_ashrrev_i32_e32 v14, 31, v13
	v_lshlrev_b64 v[21:22], 3, v[13:14]
	v_add_co_u32_e32 v21, vcc, v10, v21
	v_addc_co_u32_e32 v22, vcc, v11, v22, vcc
	s_andn2_b64 vcc, exec, s[14:15]
	global_store_dwordx2 v[21:22], v[17:18], off
	global_store_dwordx2 v[15:16], v[19:20], off offset:-8
	s_cbranch_vccnz .LBB18_31
; %bb.36:                               ;   in Loop: Header=BB18_32 Depth=1
	s_lshl_b64 s[18:19], s[2:3], 2
	v_mov_b32_e32 v16, s19
	v_add_co_u32_e32 v15, vcc, s18, v23
	v_lshlrev_b64 v[13:14], 2, v[13:14]
	v_addc_co_u32_e32 v16, vcc, v24, v16, vcc
	v_add_co_u32_e32 v13, vcc, v23, v13
	v_addc_co_u32_e32 v14, vcc, v24, v14, vcc
	global_load_dword v17, v[15:16], off offset:-4
	global_load_dword v18, v[13:14], off
	s_waitcnt vmcnt(1)
	global_store_dword v[13:14], v17, off
	s_waitcnt vmcnt(1)
	global_store_dword v[15:16], v18, off offset:-4
	s_branch .LBB18_31
.LBB18_37:
	s_or_b64 exec, exec, s[6:7]
	v_mov_b32_e32 v8, 0
	v_cmp_lt_i32_e32 vcc, 0, v7
	s_and_saveexec_b64 s[6:7], vcc
	s_cbranch_execz .LBB18_52
; %bb.38:
	s_load_dwordx4 s[0:3], s[4:5], 0x18
	s_add_i32 s24, s38, -1
	v_mul_lo_u32 v16, v4, s24
	v_mov_b32_e32 v18, s31
	s_mov_b32 s15, 0
	s_waitcnt lgkmcnt(0)
	v_mad_i64_i32 v[8:9], s[10:11], v4, s3, 0
	s_ashr_i32 s5, s2, 31
	s_mov_b32 s4, s2
	v_lshlrev_b64 v[8:9], 3, v[8:9]
	v_mov_b32_e32 v13, s1
	v_add_co_u32_e32 v14, vcc, s0, v8
	s_lshl_b64 s[2:3], s[4:5], 3
	v_addc_co_u32_e32 v13, vcc, v13, v9, vcc
	v_ashrrev_i32_e32 v17, 31, v16
	v_mov_b32_e32 v15, s3
	v_add_co_u32_e32 v14, vcc, s2, v14
	v_lshlrev_b64 v[16:17], 3, v[16:17]
	v_addc_co_u32_e32 v15, vcc, v13, v15, vcc
	v_ashrrev_i32_e32 v13, 31, v12
	v_mov_b32_e32 v4, s29
	v_add_co_u32_e32 v16, vcc, s28, v16
	v_lshlrev_b64 v[12:13], 3, v[12:13]
	v_addc_co_u32_e32 v17, vcc, v4, v17, vcc
	s_cmp_gt_i32 s38, 1
	v_add_co_u32_e32 v4, vcc, s30, v12
	s_cselect_b64 s[4:5], -1, 0
	s_add_u32 s0, s0, s2
	v_addc_co_u32_e32 v36, vcc, v18, v13, vcc
	s_addc_u32 s1, s1, s3
	v_mov_b32_e32 v12, s1
	v_add_co_u32_e32 v8, vcc, s0, v8
	v_addc_co_u32_e32 v9, vcc, v12, v9, vcc
	v_add_co_u32_e32 v12, vcc, 8, v8
	v_add_u32_e32 v37, -1, v7
	v_addc_co_u32_e32 v13, vcc, 0, v9, vcc
	s_mov_b64 s[10:11], 0
	v_mov_b32_e32 v8, 0
	s_mov_b32 s14, s15
	s_branch .LBB18_41
.LBB18_39:                              ;   in Loop: Header=BB18_41 Depth=1
	s_or_b64 exec, exec, s[0:1]
.LBB18_40:                              ;   in Loop: Header=BB18_41 Depth=1
	s_or_b64 exec, exec, s[18:19]
	s_add_i32 s14, s14, 1
	v_cmp_eq_u32_e32 vcc, s14, v7
	s_or_b64 s[10:11], vcc, s[10:11]
	s_andn2_b64 exec, exec, s[10:11]
	s_cbranch_execz .LBB18_51
.LBB18_41:                              ; =>This Loop Header: Depth=1
                                        ;     Child Loop BB18_43 Depth 2
                                        ;     Child Loop BB18_48 Depth 2
	s_lshl_b64 s[0:1], s[14:15], 3
	v_mov_b32_e32 v9, s1
	v_add_co_u32_e32 v18, vcc, s0, v32
	v_addc_co_u32_e32 v19, vcc, v33, v9, vcc
	global_load_dwordx2 v[18:19], v[18:19], off
	v_mov_b32_e32 v25, v11
	s_mov_b64 s[2:3], 0
	v_mov_b32_e32 v24, v10
	s_mov_b32 s25, s15
                                        ; implicit-def: $sgpr0_sgpr1
                                        ; implicit-def: $sgpr20_sgpr21
                                        ; implicit-def: $sgpr18_sgpr19
	s_branch .LBB18_43
.LBB18_42:                              ;   in Loop: Header=BB18_43 Depth=2
	s_or_b64 exec, exec, s[22:23]
	s_and_b64 s[22:23], exec, s[20:21]
	s_or_b64 s[2:3], s[22:23], s[2:3]
	s_andn2_b64 s[0:1], s[0:1], exec
	s_and_b64 s[22:23], s[18:19], exec
	v_mov_b32_e32 v9, s25
	s_or_b64 s[0:1], s[0:1], s[22:23]
	s_mov_b32 s25, s26
	s_andn2_b64 exec, exec, s[2:3]
	s_cbranch_execz .LBB18_45
.LBB18_43:                              ;   Parent Loop BB18_41 Depth=1
                                        ; =>  This Inner Loop Header: Depth=2
	global_load_dwordx2 v[20:21], v[24:25], off
	v_mov_b32_e32 v22, v24
	v_mov_b32_e32 v23, v25
	s_or_b64 s[18:19], s[18:19], exec
	s_or_b64 s[20:21], s[20:21], exec
                                        ; implicit-def: $sgpr26
                                        ; implicit-def: $vgpr24_vgpr25
	s_waitcnt vmcnt(0)
	v_cmp_neq_f64_e32 vcc, v[18:19], v[20:21]
	s_and_saveexec_b64 s[22:23], vcc
	s_cbranch_execz .LBB18_42
; %bb.44:                               ;   in Loop: Header=BB18_43 Depth=2
	v_add_co_u32_e32 v24, vcc, 8, v22
	s_add_i32 s26, s25, 1
	v_addc_co_u32_e32 v25, vcc, 0, v23, vcc
	v_cmp_eq_u32_e32 vcc, s26, v7
	s_andn2_b64 s[20:21], s[20:21], exec
	s_and_b64 s[28:29], vcc, exec
	s_andn2_b64 s[18:19], s[18:19], exec
	s_or_b64 s[20:21], s[20:21], s[28:29]
	s_branch .LBB18_42
.LBB18_45:                              ;   in Loop: Header=BB18_41 Depth=1
	s_or_b64 exec, exec, s[2:3]
	s_and_saveexec_b64 s[2:3], s[0:1]
	s_xor_b64 s[18:19], exec, s[2:3]
	s_cbranch_execz .LBB18_40
; %bb.46:                               ;   in Loop: Header=BB18_41 Depth=1
	v_cmp_eq_u32_e32 vcc, v9, v37
	v_cndmask_b32_e32 v23, v23, v36, vcc
	v_cndmask_b32_e32 v22, v22, v4, vcc
	global_load_dwordx2 v[22:23], v[22:23], off offset:8
	s_nop 0
	global_load_dwordx2 v[24:25], v[14:15], off
	s_andn2_b64 vcc, exec, s[4:5]
	s_waitcnt vmcnt(1)
	v_add_f64 v[20:21], v[22:23], -v[20:21]
	v_fma_f64 v[20:21], v[20:21], 0.5, v[18:19]
	s_waitcnt vmcnt(0)
	v_add_f64 v[26:27], v[24:25], -v[20:21]
	v_cmp_le_f64_e64 s[0:1], v[26:27], v[5:6]
	v_cndmask_b32_e64 v9, 0, 1, s[0:1]
	s_cbranch_vccnz .LBB18_49
; %bb.47:                               ;   in Loop: Header=BB18_41 Depth=1
	v_cmp_gt_f64_e64 s[2:3], v[26:27], -v[5:6]
	v_xor_b32_e32 v38, 0x80000000, v6
	v_mov_b32_e32 v23, v17
	v_mov_b32_e32 v25, v13
	v_mov_b32_e32 v22, v16
	v_mov_b32_e32 v24, v12
	s_mov_b32 s20, s24
	s_and_b64 vcc, s[0:1], s[2:3]
	v_cndmask_b32_e32 v27, v27, v38, vcc
	v_cndmask_b32_e32 v26, v26, v5, vcc
.LBB18_48:                              ;   Parent Loop BB18_41 Depth=1
                                        ; =>  This Inner Loop Header: Depth=2
	global_load_dwordx2 v[39:40], v[22:23], off
	global_load_dwordx2 v[43:44], v[24:25], off
	s_add_i32 s20, s20, -1
	s_waitcnt vmcnt(1)
	v_div_scale_f64 v[41:42], s[0:1], v[26:27], v[26:27], v[39:40]
	s_waitcnt vmcnt(0)
	v_add_f64 v[43:44], v[43:44], -v[20:21]
	v_add_co_u32_e64 v22, s[0:1], 8, v22
	v_rcp_f64_e32 v[45:46], v[41:42]
	v_fma_f64 v[47:48], -v[41:42], v[45:46], 1.0
	v_fma_f64 v[45:46], v[45:46], v[47:48], v[45:46]
	v_div_scale_f64 v[47:48], vcc, v[39:40], v[26:27], v[39:40]
	v_fma_f64 v[49:50], -v[41:42], v[45:46], 1.0
	v_fma_f64 v[45:46], v[45:46], v[49:50], v[45:46]
	v_mul_f64 v[49:50], v[47:48], v[45:46]
	v_fma_f64 v[41:42], -v[41:42], v[49:50], v[47:48]
	v_div_fmas_f64 v[41:42], v[41:42], v[45:46], v[49:50]
	v_add_co_u32_e32 v24, vcc, 8, v24
	v_addc_co_u32_e32 v25, vcc, 0, v25, vcc
	v_addc_co_u32_e64 v23, vcc, 0, v23, s[0:1]
	v_div_fixup_f64 v[26:27], v[41:42], v[26:27], v[39:40]
	v_add_f64 v[26:27], v[43:44], -v[26:27]
	v_cmp_le_f64_e64 s[2:3], v[26:27], v[5:6]
	v_cmp_gt_f64_e64 s[22:23], v[26:27], -v[5:6]
	v_addc_co_u32_e64 v9, vcc, 0, v9, s[2:3]
	s_and_b64 vcc, s[2:3], s[22:23]
	v_cndmask_b32_e32 v27, v27, v38, vcc
	s_cmp_lg_u32 s20, 0
	v_cndmask_b32_e32 v26, v26, v5, vcc
	s_cbranch_scc1 .LBB18_48
.LBB18_49:                              ;   in Loop: Header=BB18_41 Depth=1
	v_cmp_le_i32_e32 vcc, s39, v9
	v_cmp_ge_i32_e64 s[0:1], s33, v9
	s_and_b64 s[2:3], vcc, s[0:1]
	s_and_saveexec_b64 s[0:1], s[2:3]
	s_cbranch_execz .LBB18_39
; %bb.50:                               ;   in Loop: Header=BB18_41 Depth=1
	s_lshl_b64 s[2:3], s[14:15], 2
	v_mov_b32_e32 v9, s3
	v_add_co_u32_e32 v20, vcc, s2, v34
	v_addc_co_u32_e32 v21, vcc, v35, v9, vcc
	global_load_dword v24, v[20:21], off
	v_ashrrev_i32_e32 v9, 31, v8
	v_lshlrev_b64 v[20:21], 3, v[8:9]
	v_lshlrev_b64 v[22:23], 2, v[8:9]
	v_add_co_u32_e32 v20, vcc, v28, v20
	v_addc_co_u32_e32 v21, vcc, v29, v21, vcc
	v_add_co_u32_e32 v22, vcc, v30, v22
	v_add_u32_e32 v8, 1, v8
	v_addc_co_u32_e32 v23, vcc, v31, v23, vcc
	global_store_dwordx2 v[20:21], v[18:19], off
	s_waitcnt vmcnt(1)
	global_store_dword v[22:23], v24, off
	s_branch .LBB18_39
.LBB18_51:
	s_or_b64 exec, exec, s[10:11]
.LBB18_52:
	s_or_b64 exec, exec, s[6:7]
.LBB18_53:
	v_mov_b32_e32 v4, s9
	v_add_co_u32_e32 v0, vcc, s8, v0
	v_addc_co_u32_e32 v1, vcc, v4, v1, vcc
	s_cmpk_eq_i32 s37, 0xf2
	s_cselect_b64 s[0:1], -1, 0
	v_cmp_lt_i32_e32 vcc, 1, v8
	s_mov_b32 s2, 1
	s_and_b64 s[0:1], s[0:1], vcc
	global_store_dword v[0:1], v8, off
	s_and_b64 exec, exec, s[0:1]
	s_cbranch_execz .LBB18_61
; %bb.54:
	v_mov_b32_e32 v0, s13
	v_add_co_u32_e32 v1, vcc, s12, v2
	v_addc_co_u32_e32 v2, vcc, v0, v3, vcc
	s_cmp_lg_u64 s[16:17], 0
	v_add_co_u32_e32 v0, vcc, 8, v1
	s_mov_b64 s[4:5], 0
	s_cselect_b64 s[6:7], -1, 0
	v_addc_co_u32_e32 v1, vcc, 0, v2, vcc
	s_branch .LBB18_56
.LBB18_55:                              ;   in Loop: Header=BB18_56 Depth=1
	s_or_b64 exec, exec, s[0:1]
	s_add_i32 s2, s2, 1
	v_cmp_eq_u32_e32 vcc, s2, v8
	s_or_b64 s[4:5], vcc, s[4:5]
	v_add_co_u32_e32 v0, vcc, 8, v0
	v_addc_co_u32_e32 v1, vcc, 0, v1, vcc
	s_andn2_b64 exec, exec, s[4:5]
	s_cbranch_execz .LBB18_61
.LBB18_56:                              ; =>This Loop Header: Depth=1
                                        ;     Child Loop BB18_57 Depth 2
	s_ashr_i32 s3, s2, 31
	s_lshl_b64 s[0:1], s[2:3], 3
	v_mov_b32_e32 v2, s1
	v_add_co_u32_e32 v4, vcc, s0, v28
	s_waitcnt vmcnt(1)
	v_addc_co_u32_e32 v5, vcc, v29, v2, vcc
	global_load_dwordx2 v[6:7], v[4:5], off offset:-8
	s_add_i32 s10, s2, -1
	v_mov_b32_e32 v12, v1
	v_mov_b32_e32 v2, s10
	s_mov_b64 s[8:9], 0
	v_mov_b32_e32 v11, v0
	s_mov_b32 s11, s2
	s_waitcnt vmcnt(0)
	v_mov_b32_e32 v10, v7
	v_mov_b32_e32 v9, v6
.LBB18_57:                              ;   Parent Loop BB18_56 Depth=1
                                        ; =>  This Inner Loop Header: Depth=2
	global_load_dwordx2 v[13:14], v[11:12], off
	v_add_co_u32_e64 v11, s[0:1], 8, v11
	v_mov_b32_e32 v3, s11
	s_add_i32 s11, s11, 1
	v_addc_co_u32_e64 v12, s[0:1], 0, v12, s[0:1]
	v_cmp_eq_u32_e64 s[0:1], s11, v8
	s_or_b64 s[8:9], s[0:1], s[8:9]
	s_waitcnt vmcnt(0)
	v_cmp_lt_f64_e32 vcc, v[13:14], v[9:10]
	v_cndmask_b32_e32 v10, v10, v14, vcc
	v_cndmask_b32_e32 v9, v9, v13, vcc
	v_cndmask_b32_e32 v2, v2, v3, vcc
	s_andn2_b64 exec, exec, s[8:9]
	s_cbranch_execnz .LBB18_57
; %bb.58:                               ;   in Loop: Header=BB18_56 Depth=1
	s_or_b64 exec, exec, s[8:9]
	v_cmp_ne_u32_e32 vcc, s10, v2
	s_and_saveexec_b64 s[0:1], vcc
	s_cbranch_execz .LBB18_55
; %bb.59:                               ;   in Loop: Header=BB18_56 Depth=1
	v_ashrrev_i32_e32 v3, 31, v2
	v_lshlrev_b64 v[11:12], 3, v[2:3]
	v_add_co_u32_e32 v11, vcc, v28, v11
	v_addc_co_u32_e32 v12, vcc, v29, v12, vcc
	s_andn2_b64 vcc, exec, s[6:7]
	global_store_dwordx2 v[11:12], v[6:7], off
	global_store_dwordx2 v[4:5], v[9:10], off offset:-8
	s_cbranch_vccnz .LBB18_55
; %bb.60:                               ;   in Loop: Header=BB18_56 Depth=1
	s_lshl_b64 s[8:9], s[2:3], 2
	v_mov_b32_e32 v5, s9
	v_add_co_u32_e32 v4, vcc, s8, v30
	v_lshlrev_b64 v[2:3], 2, v[2:3]
	v_addc_co_u32_e32 v5, vcc, v31, v5, vcc
	v_add_co_u32_e32 v2, vcc, v30, v2
	v_addc_co_u32_e32 v3, vcc, v31, v3, vcc
	global_load_dword v6, v[4:5], off offset:-4
	global_load_dword v7, v[2:3], off
	s_waitcnt vmcnt(1)
	global_store_dword v[2:3], v6, off
	s_waitcnt vmcnt(1)
	global_store_dword v[4:5], v7, off offset:-4
	s_branch .LBB18_55
.LBB18_61:
	s_endpgm
	.section	.rodata,"a",@progbits
	.p2align	6, 0x0
	.amdhsa_kernel _ZN9rocsolver6v33100L22stebz_synthesis_kernelIdPdEEv15rocblas_erange_15rocblas_eorder_iiiT0_iiPiS6_PT_lS6_lS6_liS6_S8_S8_S8_S8_S6_S7_
		.amdhsa_group_segment_fixed_size 0
		.amdhsa_private_segment_fixed_size 0
		.amdhsa_kernarg_size 424
		.amdhsa_user_sgpr_count 6
		.amdhsa_user_sgpr_private_segment_buffer 1
		.amdhsa_user_sgpr_dispatch_ptr 0
		.amdhsa_user_sgpr_queue_ptr 0
		.amdhsa_user_sgpr_kernarg_segment_ptr 1
		.amdhsa_user_sgpr_dispatch_id 0
		.amdhsa_user_sgpr_flat_scratch_init 0
		.amdhsa_user_sgpr_private_segment_size 0
		.amdhsa_uses_dynamic_stack 0
		.amdhsa_system_sgpr_private_segment_wavefront_offset 0
		.amdhsa_system_sgpr_workgroup_id_x 1
		.amdhsa_system_sgpr_workgroup_id_y 0
		.amdhsa_system_sgpr_workgroup_id_z 0
		.amdhsa_system_sgpr_workgroup_info 0
		.amdhsa_system_vgpr_workitem_id 0
		.amdhsa_next_free_vgpr 51
		.amdhsa_next_free_sgpr 40
		.amdhsa_reserve_vcc 1
		.amdhsa_reserve_flat_scratch 0
		.amdhsa_float_round_mode_32 0
		.amdhsa_float_round_mode_16_64 0
		.amdhsa_float_denorm_mode_32 3
		.amdhsa_float_denorm_mode_16_64 3
		.amdhsa_dx10_clamp 1
		.amdhsa_ieee_mode 1
		.amdhsa_fp16_overflow 0
		.amdhsa_exception_fp_ieee_invalid_op 0
		.amdhsa_exception_fp_denorm_src 0
		.amdhsa_exception_fp_ieee_div_zero 0
		.amdhsa_exception_fp_ieee_overflow 0
		.amdhsa_exception_fp_ieee_underflow 0
		.amdhsa_exception_fp_ieee_inexact 0
		.amdhsa_exception_int_div_zero 0
	.end_amdhsa_kernel
	.section	.text._ZN9rocsolver6v33100L22stebz_synthesis_kernelIdPdEEv15rocblas_erange_15rocblas_eorder_iiiT0_iiPiS6_PT_lS6_lS6_liS6_S8_S8_S8_S8_S6_S7_,"axG",@progbits,_ZN9rocsolver6v33100L22stebz_synthesis_kernelIdPdEEv15rocblas_erange_15rocblas_eorder_iiiT0_iiPiS6_PT_lS6_lS6_liS6_S8_S8_S8_S8_S6_S7_,comdat
.Lfunc_end18:
	.size	_ZN9rocsolver6v33100L22stebz_synthesis_kernelIdPdEEv15rocblas_erange_15rocblas_eorder_iiiT0_iiPiS6_PT_lS6_lS6_liS6_S8_S8_S8_S8_S6_S7_, .Lfunc_end18-_ZN9rocsolver6v33100L22stebz_synthesis_kernelIdPdEEv15rocblas_erange_15rocblas_eorder_iiiT0_iiPiS6_PT_lS6_lS6_liS6_S8_S8_S8_S8_S6_S7_
                                        ; -- End function
	.set _ZN9rocsolver6v33100L22stebz_synthesis_kernelIdPdEEv15rocblas_erange_15rocblas_eorder_iiiT0_iiPiS6_PT_lS6_lS6_liS6_S8_S8_S8_S8_S6_S7_.num_vgpr, 51
	.set _ZN9rocsolver6v33100L22stebz_synthesis_kernelIdPdEEv15rocblas_erange_15rocblas_eorder_iiiT0_iiPiS6_PT_lS6_lS6_liS6_S8_S8_S8_S8_S6_S7_.num_agpr, 0
	.set _ZN9rocsolver6v33100L22stebz_synthesis_kernelIdPdEEv15rocblas_erange_15rocblas_eorder_iiiT0_iiPiS6_PT_lS6_lS6_liS6_S8_S8_S8_S8_S6_S7_.numbered_sgpr, 40
	.set _ZN9rocsolver6v33100L22stebz_synthesis_kernelIdPdEEv15rocblas_erange_15rocblas_eorder_iiiT0_iiPiS6_PT_lS6_lS6_liS6_S8_S8_S8_S8_S6_S7_.num_named_barrier, 0
	.set _ZN9rocsolver6v33100L22stebz_synthesis_kernelIdPdEEv15rocblas_erange_15rocblas_eorder_iiiT0_iiPiS6_PT_lS6_lS6_liS6_S8_S8_S8_S8_S6_S7_.private_seg_size, 0
	.set _ZN9rocsolver6v33100L22stebz_synthesis_kernelIdPdEEv15rocblas_erange_15rocblas_eorder_iiiT0_iiPiS6_PT_lS6_lS6_liS6_S8_S8_S8_S8_S6_S7_.uses_vcc, 1
	.set _ZN9rocsolver6v33100L22stebz_synthesis_kernelIdPdEEv15rocblas_erange_15rocblas_eorder_iiiT0_iiPiS6_PT_lS6_lS6_liS6_S8_S8_S8_S8_S6_S7_.uses_flat_scratch, 0
	.set _ZN9rocsolver6v33100L22stebz_synthesis_kernelIdPdEEv15rocblas_erange_15rocblas_eorder_iiiT0_iiPiS6_PT_lS6_lS6_liS6_S8_S8_S8_S8_S6_S7_.has_dyn_sized_stack, 0
	.set _ZN9rocsolver6v33100L22stebz_synthesis_kernelIdPdEEv15rocblas_erange_15rocblas_eorder_iiiT0_iiPiS6_PT_lS6_lS6_liS6_S8_S8_S8_S8_S6_S7_.has_recursion, 0
	.set _ZN9rocsolver6v33100L22stebz_synthesis_kernelIdPdEEv15rocblas_erange_15rocblas_eorder_iiiT0_iiPiS6_PT_lS6_lS6_liS6_S8_S8_S8_S8_S6_S7_.has_indirect_call, 0
	.section	.AMDGPU.csdata,"",@progbits
; Kernel info:
; codeLenInByte = 2940
; TotalNumSgprs: 44
; NumVgprs: 51
; ScratchSize: 0
; MemoryBound: 0
; FloatMode: 240
; IeeeMode: 1
; LDSByteSize: 0 bytes/workgroup (compile time only)
; SGPRBlocks: 5
; VGPRBlocks: 12
; NumSGPRsForWavesPerEU: 44
; NumVGPRsForWavesPerEU: 51
; Occupancy: 4
; WaveLimiterHint : 1
; COMPUTE_PGM_RSRC2:SCRATCH_EN: 0
; COMPUTE_PGM_RSRC2:USER_SGPR: 6
; COMPUTE_PGM_RSRC2:TRAP_HANDLER: 0
; COMPUTE_PGM_RSRC2:TGID_X_EN: 1
; COMPUTE_PGM_RSRC2:TGID_Y_EN: 0
; COMPUTE_PGM_RSRC2:TGID_Z_EN: 0
; COMPUTE_PGM_RSRC2:TIDIG_COMP_CNT: 0
	.section	.text._ZN9rocsolver6v33100L15bdsvdx_abs_eigsIdEEviPiPT_lS4_,"axG",@progbits,_ZN9rocsolver6v33100L15bdsvdx_abs_eigsIdEEviPiPT_lS4_,comdat
	.globl	_ZN9rocsolver6v33100L15bdsvdx_abs_eigsIdEEviPiPT_lS4_ ; -- Begin function _ZN9rocsolver6v33100L15bdsvdx_abs_eigsIdEEviPiPT_lS4_
	.p2align	8
	.type	_ZN9rocsolver6v33100L15bdsvdx_abs_eigsIdEEviPiPT_lS4_,@function
_ZN9rocsolver6v33100L15bdsvdx_abs_eigsIdEEviPiPT_lS4_: ; @_ZN9rocsolver6v33100L15bdsvdx_abs_eigsIdEEviPiPT_lS4_
; %bb.0:
	s_mov_b32 s0, s7
	s_load_dwordx8 s[8:15], s[4:5], 0x8
	s_load_dword s7, s[4:5], 0x0
	s_ashr_i32 s1, s0, 31
	s_lshl_b64 s[2:3], s[0:1], 2
	s_waitcnt lgkmcnt(0)
	s_add_u32 s2, s8, s2
	s_addc_u32 s3, s9, s3
	s_load_dword s9, s[2:3], 0x0
	s_load_dword s8, s[4:5], 0x34
	s_waitcnt lgkmcnt(0)
	s_cmp_le_i32 s9, s7
	s_cbranch_scc1 .LBB19_2
; %bb.1:
	v_mov_b32_e32 v1, 0
	v_mov_b32_e32 v2, s7
	s_mov_b32 s9, s7
	global_store_dword v1, v2, s[2:3]
.LBB19_2:
	s_and_b32 s2, 0xffff, s8
	s_mul_i32 s6, s6, s2
	v_add_u32_e32 v0, s6, v0
	v_cmp_gt_i32_e32 vcc, s9, v0
	s_and_saveexec_b64 s[2:3], vcc
	s_cbranch_execz .LBB19_4
; %bb.3:
	s_mul_i32 s1, s12, s1
	s_mul_hi_u32 s2, s12, s0
	s_add_i32 s1, s2, s1
	s_mul_i32 s2, s13, s0
	s_add_i32 s3, s1, s2
	s_mul_i32 s2, s12, s0
	s_lshl_b64 s[2:3], s[2:3], 3
	s_add_u32 s2, s10, s2
	s_mul_i32 s0, s0, s7
	s_addc_u32 s3, s11, s3
	s_lshl_b32 s0, s0, 1
	s_ashr_i32 s1, s0, 31
	s_lshl_b64 s[0:1], s[0:1], 3
	v_ashrrev_i32_e32 v1, 31, v0
	s_add_u32 s0, s14, s0
	v_lshlrev_b64 v[0:1], 3, v[0:1]
	s_addc_u32 s1, s15, s1
	v_mov_b32_e32 v3, s1
	v_add_co_u32_e32 v2, vcc, s0, v0
	v_addc_co_u32_e32 v3, vcc, v3, v1, vcc
	global_load_dwordx2 v[2:3], v[2:3], off
	v_mov_b32_e32 v4, s3
	v_add_co_u32_e32 v0, vcc, s2, v0
	v_addc_co_u32_e32 v1, vcc, v4, v1, vcc
	s_waitcnt vmcnt(0)
	v_xor_b32_e32 v3, 0x80000000, v3
	global_store_dwordx2 v[0:1], v[2:3], off
.LBB19_4:
	s_endpgm
	.section	.rodata,"a",@progbits
	.p2align	6, 0x0
	.amdhsa_kernel _ZN9rocsolver6v33100L15bdsvdx_abs_eigsIdEEviPiPT_lS4_
		.amdhsa_group_segment_fixed_size 0
		.amdhsa_private_segment_fixed_size 0
		.amdhsa_kernarg_size 296
		.amdhsa_user_sgpr_count 6
		.amdhsa_user_sgpr_private_segment_buffer 1
		.amdhsa_user_sgpr_dispatch_ptr 0
		.amdhsa_user_sgpr_queue_ptr 0
		.amdhsa_user_sgpr_kernarg_segment_ptr 1
		.amdhsa_user_sgpr_dispatch_id 0
		.amdhsa_user_sgpr_flat_scratch_init 0
		.amdhsa_user_sgpr_private_segment_size 0
		.amdhsa_uses_dynamic_stack 0
		.amdhsa_system_sgpr_private_segment_wavefront_offset 0
		.amdhsa_system_sgpr_workgroup_id_x 1
		.amdhsa_system_sgpr_workgroup_id_y 1
		.amdhsa_system_sgpr_workgroup_id_z 0
		.amdhsa_system_sgpr_workgroup_info 0
		.amdhsa_system_vgpr_workitem_id 0
		.amdhsa_next_free_vgpr 5
		.amdhsa_next_free_sgpr 16
		.amdhsa_reserve_vcc 1
		.amdhsa_reserve_flat_scratch 0
		.amdhsa_float_round_mode_32 0
		.amdhsa_float_round_mode_16_64 0
		.amdhsa_float_denorm_mode_32 3
		.amdhsa_float_denorm_mode_16_64 3
		.amdhsa_dx10_clamp 1
		.amdhsa_ieee_mode 1
		.amdhsa_fp16_overflow 0
		.amdhsa_exception_fp_ieee_invalid_op 0
		.amdhsa_exception_fp_denorm_src 0
		.amdhsa_exception_fp_ieee_div_zero 0
		.amdhsa_exception_fp_ieee_overflow 0
		.amdhsa_exception_fp_ieee_underflow 0
		.amdhsa_exception_fp_ieee_inexact 0
		.amdhsa_exception_int_div_zero 0
	.end_amdhsa_kernel
	.section	.text._ZN9rocsolver6v33100L15bdsvdx_abs_eigsIdEEviPiPT_lS4_,"axG",@progbits,_ZN9rocsolver6v33100L15bdsvdx_abs_eigsIdEEviPiPT_lS4_,comdat
.Lfunc_end19:
	.size	_ZN9rocsolver6v33100L15bdsvdx_abs_eigsIdEEviPiPT_lS4_, .Lfunc_end19-_ZN9rocsolver6v33100L15bdsvdx_abs_eigsIdEEviPiPT_lS4_
                                        ; -- End function
	.set _ZN9rocsolver6v33100L15bdsvdx_abs_eigsIdEEviPiPT_lS4_.num_vgpr, 5
	.set _ZN9rocsolver6v33100L15bdsvdx_abs_eigsIdEEviPiPT_lS4_.num_agpr, 0
	.set _ZN9rocsolver6v33100L15bdsvdx_abs_eigsIdEEviPiPT_lS4_.numbered_sgpr, 16
	.set _ZN9rocsolver6v33100L15bdsvdx_abs_eigsIdEEviPiPT_lS4_.num_named_barrier, 0
	.set _ZN9rocsolver6v33100L15bdsvdx_abs_eigsIdEEviPiPT_lS4_.private_seg_size, 0
	.set _ZN9rocsolver6v33100L15bdsvdx_abs_eigsIdEEviPiPT_lS4_.uses_vcc, 1
	.set _ZN9rocsolver6v33100L15bdsvdx_abs_eigsIdEEviPiPT_lS4_.uses_flat_scratch, 0
	.set _ZN9rocsolver6v33100L15bdsvdx_abs_eigsIdEEviPiPT_lS4_.has_dyn_sized_stack, 0
	.set _ZN9rocsolver6v33100L15bdsvdx_abs_eigsIdEEviPiPT_lS4_.has_recursion, 0
	.set _ZN9rocsolver6v33100L15bdsvdx_abs_eigsIdEEviPiPT_lS4_.has_indirect_call, 0
	.section	.AMDGPU.csdata,"",@progbits
; Kernel info:
; codeLenInByte = 244
; TotalNumSgprs: 20
; NumVgprs: 5
; ScratchSize: 0
; MemoryBound: 0
; FloatMode: 240
; IeeeMode: 1
; LDSByteSize: 0 bytes/workgroup (compile time only)
; SGPRBlocks: 2
; VGPRBlocks: 1
; NumSGPRsForWavesPerEU: 20
; NumVGPRsForWavesPerEU: 5
; Occupancy: 10
; WaveLimiterHint : 0
; COMPUTE_PGM_RSRC2:SCRATCH_EN: 0
; COMPUTE_PGM_RSRC2:USER_SGPR: 6
; COMPUTE_PGM_RSRC2:TRAP_HANDLER: 0
; COMPUTE_PGM_RSRC2:TGID_X_EN: 1
; COMPUTE_PGM_RSRC2:TGID_Y_EN: 1
; COMPUTE_PGM_RSRC2:TGID_Z_EN: 0
; COMPUTE_PGM_RSRC2:TIDIG_COMP_CNT: 0
	.section	.text._ZN9rocsolver6v33100L12stein_kernelIddPdEEviPT0_lS4_lPiS4_lS5_lS5_lT1_iilS5_lS5_S4_S5_S3_S3_,"axG",@progbits,_ZN9rocsolver6v33100L12stein_kernelIddPdEEviPT0_lS4_lPiS4_lS5_lS5_lT1_iilS5_lS5_S4_S5_S3_S3_,comdat
	.globl	_ZN9rocsolver6v33100L12stein_kernelIddPdEEviPT0_lS4_lPiS4_lS5_lS5_lT1_iilS5_lS5_S4_S5_S3_S3_ ; -- Begin function _ZN9rocsolver6v33100L12stein_kernelIddPdEEviPT0_lS4_lPiS4_lS5_lS5_lT1_iilS5_lS5_S4_S5_S3_S3_
	.p2align	8
	.type	_ZN9rocsolver6v33100L12stein_kernelIddPdEEviPT0_lS4_lPiS4_lS5_lS5_lT1_iilS5_lS5_S4_S5_S3_S3_,@function
_ZN9rocsolver6v33100L12stein_kernelIddPdEEviPT0_lS4_lPiS4_lS5_lS5_lT1_iilS5_lS5_S4_S5_S3_S3_: ; @_ZN9rocsolver6v33100L12stein_kernelIddPdEEviPT0_lS4_lPiS4_lS5_lS5_lT1_iilS5_lS5_S4_S5_S3_S3_
; %bb.0:
	s_load_dwordx16 s[36:51], s[4:5], 0x8
	s_mov_b32 s6, s7
	s_ashr_i32 s7, s7, 31
	s_lshl_b64 s[2:3], s[6:7], 2
	s_waitcnt lgkmcnt(0)
	s_add_u32 s0, s44, s2
	s_addc_u32 s1, s45, s3
	s_load_dword s92, s[0:1], 0x0
	s_waitcnt lgkmcnt(0)
	s_cmp_lt_i32 s92, 1
	s_cbranch_scc1 .LBB20_246
; %bb.1:
	s_load_dwordx16 s[16:31], s[4:5], 0x70
                                        ; implicit-def: $vgpr61 : SGPR spill to VGPR lane
	s_mov_b64 s[0:1], 0
	v_writelane_b32 v61, s2, 0
	v_writelane_b32 v61, s3, 1
	;; [unrolled: 1-line block ×3, first 2 shown]
	s_waitcnt lgkmcnt(0)
	s_cmp_eq_u64 s[18:19], 0
	v_writelane_b32 v61, s1, 3
	s_cbranch_scc1 .LBB20_3
; %bb.2:
	s_mul_i32 s0, s20, s7
	s_mul_hi_u32 s1, s20, s6
	s_add_i32 s0, s1, s0
	s_mul_i32 s1, s21, s6
	s_add_i32 s1, s0, s1
	s_mul_i32 s0, s20, s6
	s_lshl_b64 s[0:1], s[0:1], 2
	s_add_u32 s0, s18, s0
	s_addc_u32 s1, s19, s1
	v_writelane_b32 v61, s0, 2
	v_writelane_b32 v61, s1, 3
.LBB20_3:
	v_cmp_eq_u32_e64 s[0:1], 0, v0
	s_and_saveexec_b64 s[2:3], s[0:1]
; %bb.4:
	v_mov_b32_e32 v1, 0
	ds_write_b32 v1, v1
; %bb.5:
	s_or_b64 exec, exec, s[2:3]
	v_readlane_b32 s2, v61, 2
	v_readlane_b32 s3, v61, 3
	s_cmp_lg_u64 s[2:3], 0
	s_cselect_b64 s[18:19], -1, 0
	v_cmp_gt_u32_e32 vcc, s92, v0
	s_mov_b64 s[8:9], 0
	s_and_b64 s[2:3], vcc, s[18:19]
	v_lshlrev_b32_e32 v45, 2, v0
	s_and_saveexec_b64 s[10:11], s[2:3]
	s_cbranch_execz .LBB20_8
; %bb.6:
	v_readlane_b32 s2, v61, 2
	v_readlane_b32 s3, v61, 3
	v_mov_b32_e32 v2, s3
	v_add_co_u32_e32 v1, vcc, s2, v45
	v_mov_b32_e32 v3, 0
	v_addc_co_u32_e32 v2, vcc, 0, v2, vcc
	v_mov_b32_e32 v4, v0
.LBB20_7:                               ; =>This Inner Loop Header: Depth=1
	v_add_u32_e32 v4, 0x100, v4
	global_store_dword v[1:2], v3, off
	v_add_co_u32_e32 v1, vcc, 0x400, v1
	v_cmp_le_i32_e64 s[2:3], s92, v4
	s_or_b64 s[8:9], s[2:3], s[8:9]
	v_addc_co_u32_e32 v2, vcc, 0, v2, vcc
	s_andn2_b64 exec, exec, s[8:9]
	s_cbranch_execnz .LBB20_7
.LBB20_8:
	s_or_b64 exec, exec, s[10:11]
	s_load_dwordx8 s[8:15], s[4:5], 0x48
	s_mov_b32 s21, 0
	s_mov_b32 s93, s21
	v_mov_b32_e32 v1, 0
	s_waitcnt lgkmcnt(0)
	s_mul_i32 s3, s8, s7
	s_mul_hi_u32 s20, s8, s6
	s_mul_i32 s9, s9, s6
	s_add_i32 s3, s20, s3
	s_mul_i32 s2, s8, s6
	s_add_i32 s3, s3, s9
	s_lshl_b64 s[2:3], s[2:3], 2
	s_add_u32 s64, s50, s2
	s_addc_u32 s65, s51, s3
	s_lshl_b64 s[2:3], s[92:93], 2
	s_add_u32 s2, s64, s2
	s_addc_u32 s3, s65, s3
	v_writelane_b32 v61, s2, 4
	v_writelane_b32 v61, s3, 5
	s_nop 3
	global_load_dword v2, v1, s[2:3] offset:-4
	s_waitcnt vmcnt(0)
	v_cmp_gt_i32_e32 vcc, 1, v2
	s_cbranch_vccnz .LBB20_244
; %bb.9:
	s_load_dword s54, s[4:5], 0x0
	s_load_dwordx2 s[56:57], s[4:5], 0x68
	v_div_scale_f64 v[3:4], s[4:5], s[30:31], s[30:31], 1.0
	s_mul_i32 s2, s38, s7
	s_mul_hi_u32 s3, s38, s6
	s_add_i32 s2, s3, s2
	s_mul_i32 s3, s39, s6
	s_add_i32 s3, s2, s3
	s_mul_i32 s2, s38, s6
	s_waitcnt lgkmcnt(0)
	s_ashr_i32 s55, s54, 31
	s_lshl_b64 s[2:3], s[2:3], 3
	s_add_u32 s20, s36, s2
	s_addc_u32 s38, s37, s3
	s_mul_i32 s2, s42, s7
	s_mul_hi_u32 s3, s42, s6
	s_add_i32 s2, s3, s2
	s_mul_i32 s3, s43, s6
	v_rcp_f64_e32 v[5:6], v[3:4]
	s_add_i32 s3, s2, s3
	s_mul_i32 s2, s42, s6
	s_lshl_b64 s[2:3], s[2:3], 3
	s_add_u32 s39, s40, s2
	s_addc_u32 s50, s41, s3
	s_mul_i32 s2, s48, s7
	s_mul_hi_u32 s3, s48, s6
	s_add_i32 s2, s3, s2
	s_mul_i32 s3, s49, s6
	s_add_i32 s3, s2, s3
	s_mul_i32 s2, s48, s6
	s_lshl_b64 s[2:3], s[2:3], 3
	s_add_u32 s63, s46, s2
	s_addc_u32 s33, s47, s3
	s_mul_i32 s2, s12, s7
	v_fma_f64 v[7:8], -v[3:4], v[5:6], 1.0
	s_mul_hi_u32 s3, s12, s6
	s_add_i32 s2, s3, s2
	s_mul_i32 s3, s13, s6
	v_div_scale_f64 v[9:10], vcc, 1.0, s[30:31], 1.0
	s_add_i32 s3, s2, s3
	s_mul_i32 s2, s12, s6
	v_fma_f64 v[5:6], v[5:6], v[7:8], v[5:6]
	s_lshl_b64 s[2:3], s[2:3], 2
	s_add_u32 s34, s10, s2
	s_mul_i32 s8, s54, 5
	s_addc_u32 s2, s11, s3
	v_writelane_b32 v61, s2, 6
	s_mul_hi_i32 s3, s8, s6
	s_mul_i32 s2, s8, s6
	v_fma_f64 v[7:8], -v[3:4], v[5:6], 1.0
	s_lshl_b64 s[4:5], s[2:3], 3
	s_add_u32 s36, s24, s4
	s_mul_hi_i32 s9, s54, s6
	s_mul_i32 s8, s54, s6
	s_addc_u32 s37, s25, s5
	s_lshl_b64 s[8:9], s[8:9], 2
	s_add_u32 s78, s26, s8
	v_fma_f64 v[5:6], v[5:6], v[7:8], v[5:6]
	s_mul_i32 s7, s16, s7
	s_mul_hi_u32 s10, s16, s6
	s_addc_u32 s79, s27, s9
	s_add_i32 s7, s10, s7
	s_mul_i32 s10, s17, s6
	s_add_i32 s7, s7, s10
	s_mul_i32 s6, s16, s6
	s_ashr_i32 s9, s56, 31
	s_lshl_b64 s[6:7], s[6:7], 3
	s_mov_b32 s8, s56
	s_add_u32 s10, s14, s6
	s_addc_u32 s11, s15, s7
	s_lshl_b64 s[6:7], s[8:9], 3
	s_add_u32 s56, s10, s6
	s_mul_i32 s14, s54, 3
	s_addc_u32 s72, s11, s7
	s_ashr_i32 s15, s14, 31
	v_mul_f64 v[7:8], v[9:10], v[5:6]
	s_lshl_b64 s[6:7], s[14:15], 3
	s_add_u32 s40, s36, s6
	s_addc_u32 s41, s37, s7
	s_lshl_b64 s[8:9], s[54:55], 4
	s_sub_u32 s73, 0, s8
	s_subb_u32 s58, 0, s9
	s_add_u32 s42, s40, s73
	s_addc_u32 s43, s41, s58
	s_lshl_b64 s[10:11], s[54:55], 3
	s_add_u32 s46, s42, s10
	v_fma_f64 v[3:4], -v[3:4], v[7:8], v[9:10]
	s_addc_u32 s47, s43, s11
	s_add_u32 s48, s46, s8
	s_addc_u32 s49, s47, s9
	s_and_b64 s[80:81], s[0:1], s[18:19]
	s_add_u32 s12, s39, 8
	v_writelane_b32 v61, s12, 7
	s_addc_u32 s12, s50, 0
	v_writelane_b32 v61, s12, 8
	s_add_u32 s12, s20, 8
	v_writelane_b32 v61, s12, 9
	s_addc_u32 s12, s38, 0
	s_add_u32 s6, s4, s6
	v_div_fmas_f64 v[11:12], v[3:4], v[5:6], v[7:8]
	s_addc_u32 s7, s5, s7
	v_writelane_b32 v61, s12, 10
	s_add_u32 s12, s24, s6
	v_lshlrev_b32_e32 v13, 3, v0
	s_addc_u32 s13, s25, s7
	s_lshl_b32 s59, s54, 1
	v_mov_b32_e32 v4, s37
	v_add_co_u32_e32 v3, vcc, s36, v13
	v_add_u32_e32 v7, s54, v0
	s_sub_u32 s4, s6, s8
	v_addc_co_u32_e32 v4, vcc, 0, v4, vcc
	v_ashrrev_i32_e32 v8, 31, v7
	s_subb_u32 s5, s7, s9
	v_mov_b32_e32 v6, s13
	v_add_co_u32_e32 v5, vcc, s12, v13
	v_lshlrev_b64 v[7:8], 3, v[7:8]
	v_writelane_b32 v61, s4, 11
	v_addc_co_u32_e32 v6, vcc, 0, v6, vcc
	v_writelane_b32 v61, s5, 12
	s_add_u32 s2, s2, s14
	s_mov_b32 s4, s14
	v_mov_b32_e32 v9, s37
	v_add_co_u32_e32 v7, vcc, s36, v7
	v_writelane_b32 v61, s4, 13
	s_addc_u32 s3, s3, s15
	v_addc_co_u32_e32 v8, vcc, v9, v8, vcc
	v_max_f64 v[9:10], s[28:29], s[28:29]
	v_writelane_b32 v61, s5, 14
	s_add_u32 s4, s2, s54
	s_addc_u32 s5, s3, s55
	s_lshl_b64 s[4:5], s[4:5], 3
	s_lshl_b64 s[2:3], s[2:3], 3
	v_writelane_b32 v61, s4, 15
	s_sub_u32 s2, s2, s10
	v_writelane_b32 v61, s5, 16
	s_subb_u32 s3, s3, s11
	v_writelane_b32 v61, s2, 17
	v_writelane_b32 v61, s3, 18
	s_add_u32 s2, s6, 8
	s_addc_u32 s3, s7, 0
	v_max_f64 v[9:10], v[9:10], 0
	v_div_fixup_f64 v[11:12], v[11:12], s[30:31], 1.0
	v_writelane_b32 v61, s2, 19
	v_writelane_b32 v61, s3, 20
	v_writelane_b32 v61, s20, 21
	s_add_u32 s68, s12, 16
	v_writelane_b32 v61, s38, 22
	s_addc_u32 s69, s13, 0
	v_writelane_b32 v61, s39, 23
	v_add_co_u32_e32 v7, vcc, 8, v7
	v_add_u32_e32 v46, 8, v13
	s_add_u32 s70, s36, 8
	s_mov_b32 s76, 0xff800000
	s_movk_i32 s2, 0x80
	v_writelane_b32 v61, s50, 24
	v_addc_co_u32_e32 v8, vcc, 0, v8, vcc
	v_sub_u32_e32 v47, v46, v45
	s_addc_u32 s71, s37, 0
	v_mov_b32_e32 v48, 0x260
	s_mov_b32 s77, 0x41dfffff
	v_mov_b32_e32 v49, 1
	v_mov_b32_e32 v50, 0x3ff00000
	;; [unrolled: 1-line block ×3, first 2 shown]
	v_cmp_gt_u32_e64 s[2:3], s2, v0
	s_brev_b32 s55, -2
	s_movk_i32 s14, 0x800
	s_mov_b32 s15, 0
	v_cmp_gt_u32_e64 s[4:5], 64, v0
	v_cmp_gt_i32_e64 s[90:91], s54, v0
	s_mov_b32 s82, s21
	v_writelane_b32 v61, s34, 25
                                        ; implicit-def: $vgpr27_vgpr28
                                        ; implicit-def: $vgpr15_vgpr16
                                        ; implicit-def: $vgpr17_vgpr18
                                        ; implicit-def: $vgpr13_vgpr14
                                        ; implicit-def: $sgpr85
	v_writelane_b32 v61, s65, 26
	s_branch .LBB20_12
.LBB20_10:                              ;   in Loop: Header=BB20_12 Depth=1
	v_readlane_b32 s8, v61, 4
	v_readlane_b32 s9, v61, 5
	s_mov_b32 s15, s18
	v_readlane_b32 s20, v61, 21
	v_readlane_b32 s38, v61, 22
	;; [unrolled: 1-line block ×4, first 2 shown]
	global_load_dword v2, v1, s[8:9] offset:-4
	v_readlane_b32 s34, v61, 25
.LBB20_11:                              ;   in Loop: Header=BB20_12 Depth=1
	s_add_i32 s82, s82, 1
	s_waitcnt vmcnt(0)
	v_cmp_ge_i32_e32 vcc, s82, v2
	s_cbranch_vccnz .LBB20_244
.LBB20_12:                              ; =>This Loop Header: Depth=1
                                        ;     Child Loop BB20_17 Depth 2
                                        ;     Child Loop BB20_22 Depth 2
                                        ;       Child Loop BB20_32 Depth 3
                                        ;       Child Loop BB20_35 Depth 3
	;; [unrolled: 1-line block ×4, first 2 shown]
                                        ;         Child Loop BB20_68 Depth 4
                                        ;         Child Loop BB20_105 Depth 4
	;; [unrolled: 1-line block ×5, first 2 shown]
                                        ;           Child Loop BB20_124 Depth 5
                                        ;         Child Loop BB20_138 Depth 4
                                        ;           Child Loop BB20_139 Depth 5
                                        ;           Child Loop BB20_141 Depth 5
                                        ;         Child Loop BB20_146 Depth 4
                                        ;       Child Loop BB20_187 Depth 3
                                        ;       Child Loop BB20_224 Depth 3
	;; [unrolled: 1-line block ×4, first 2 shown]
	s_mov_b32 s84, 0
	s_cmp_eq_u32 s82, 0
	s_mov_b64 s[8:9], 0
	v_readlane_b32 s10, v61, 6
	s_cbranch_scc1 .LBB20_14
; %bb.13:                               ;   in Loop: Header=BB20_12 Depth=1
	s_mov_b32 s83, s21
	s_lshl_b64 s[8:9], s[82:83], 2
	s_add_u32 s8, s34, s8
	s_addc_u32 s9, s10, s9
	global_load_dword v19, v1, s[8:9] offset:-4
	s_mov_b64 s[8:9], s[82:83]
	s_waitcnt vmcnt(0)
	v_readfirstlane_b32 s84, v19
.LBB20_14:                              ;   in Loop: Header=BB20_12 Depth=1
	s_lshl_b64 s[8:9], s[8:9], 2
	s_add_u32 s8, s34, s8
	s_addc_u32 s9, s10, s9
	global_load_dword v19, v1, s[8:9]
	s_not_b32 s8, s84
	s_waitcnt vmcnt(0)
	v_readfirstlane_b32 s86, v19
	s_add_i32 s88, s8, s86
	s_cmp_lt_i32 s88, 1
	s_cselect_b64 s[44:45], -1, 0
	v_subrev_u32_e32 v52, s84, v19
	s_and_b64 vcc, exec, s[44:45]
	s_cbranch_vccnz .LBB20_19
; %bb.15:                               ;   in Loop: Header=BB20_12 Depth=1
	s_ashr_i32 s85, s84, 31
	s_lshl_b64 s[10:11], s[84:85], 3
	s_add_u32 s8, s20, s10
	s_addc_u32 s9, s38, s11
	s_add_u32 s16, s39, s10
	s_addc_u32 s17, s50, s11
	s_ashr_i32 s87, s86, 31
	s_lshl_b64 s[18:19], s[86:87], 3
	s_add_u32 s26, s20, s18
	s_addc_u32 s27, s38, s19
	s_add_i32 s12, s86, -2
	s_add_u32 s18, s39, s18
	s_addc_u32 s19, s50, s19
	global_load_dwordx2 v[13:14], v1, s[8:9]
	global_load_dwordx2 v[15:16], v1, s[16:17]
	global_load_dwordx2 v[17:18], v1, s[26:27] offset:-8
	global_load_dwordx2 v[19:20], v1, s[18:19] offset:-16
	s_cmp_ge_i32 s84, s12
	s_waitcnt vmcnt(2)
	v_add_f64 v[13:14], |v[13:14]|, |v[15:16]|
	s_waitcnt vmcnt(0)
	v_add_f64 v[17:18], |v[17:18]|, |v[19:20]|
	v_cmp_lt_f64_e32 vcc, v[13:14], v[17:18]
	v_cndmask_b32_e32 v14, v14, v18, vcc
	v_cndmask_b32_e32 v13, v13, v17, vcc
	s_cbranch_scc1 .LBB20_18
; %bb.16:                               ;   in Loop: Header=BB20_12 Depth=1
	v_readlane_b32 s6, v61, 7
	s_add_u32 s8, s6, s10
	v_readlane_b32 s6, v61, 8
	s_addc_u32 s9, s6, s11
	v_readlane_b32 s6, v61, 9
	s_add_u32 s10, s6, s10
	v_readlane_b32 s6, v61, 10
	s_addc_u32 s11, s6, s11
	s_mov_b32 s13, s84
.LBB20_17:                              ;   Parent Loop BB20_12 Depth=1
                                        ; =>  This Inner Loop Header: Depth=2
	global_load_dwordx2 v[17:18], v1, s[10:11]
	s_add_i32 s13, s13, 1
	s_waitcnt vmcnt(0)
	v_add_f64 v[17:18], |v[15:16]|, |v[17:18]|
	global_load_dwordx2 v[15:16], v1, s[8:9]
	s_add_u32 s8, s8, 8
	s_addc_u32 s9, s9, 0
	s_add_u32 s10, s10, 8
	s_addc_u32 s11, s11, 0
	s_cmp_lt_i32 s13, s12
	s_waitcnt vmcnt(0)
	v_add_f64 v[17:18], v[17:18], |v[15:16]|
	v_cmp_lt_f64_e32 vcc, v[13:14], v[17:18]
	v_cndmask_b32_e32 v14, v14, v18, vcc
	v_cndmask_b32_e32 v13, v13, v17, vcc
	s_cbranch_scc1 .LBB20_17
.LBB20_18:                              ;   in Loop: Header=BB20_12 Depth=1
	v_cvt_f64_u32_e32 v[15:16], v52
	s_mov_b32 s6, 0x9999999a
	s_mov_b32 s7, 0x3fb99999
	;; [unrolled: 1-line block ×3, first 2 shown]
	v_div_scale_f64 v[17:18], s[8:9], v[15:16], v[15:16], s[6:7]
	v_rcp_f64_e32 v[19:20], v[17:18]
	v_fma_f64 v[21:22], -v[17:18], v[19:20], 1.0
	v_fma_f64 v[19:20], v[19:20], v[21:22], v[19:20]
	v_div_scale_f64 v[21:22], vcc, s[6:7], v[15:16], s[6:7]
	v_fma_f64 v[23:24], -v[17:18], v[19:20], 1.0
	v_fma_f64 v[19:20], v[19:20], v[23:24], v[19:20]
	v_mul_f64 v[23:24], v[21:22], v[19:20]
	v_fma_f64 v[17:18], -v[17:18], v[23:24], v[21:22]
	v_div_fmas_f64 v[17:18], v[17:18], v[19:20], v[23:24]
	v_div_fixup_f64 v[15:16], v[17:18], v[15:16], s[6:7]
	s_mov_b32 s6, 0
	s_brev_b32 s7, 8
	v_cmp_gt_f64_e32 vcc, s[6:7], v[15:16]
	s_mov_b32 s6, 0xd2f1a9fc
	s_mov_b32 s7, 0x3f50624d
	s_and_b64 s[8:9], vcc, exec
	s_cselect_b32 s8, 0x100, 0
	v_ldexp_f64 v[15:16], v[15:16], s8
	s_cselect_b32 s8, 0xffffff80, 0
	v_rsq_f64_e32 v[17:18], v[15:16]
	v_cmp_class_f64_e32 vcc, v[15:16], v48
	v_mul_f64 v[19:20], v[15:16], v[17:18]
	v_mul_f64 v[17:18], v[17:18], 0.5
	v_fma_f64 v[21:22], -v[17:18], v[19:20], 0.5
	v_fma_f64 v[19:20], v[19:20], v[21:22], v[19:20]
	v_fma_f64 v[17:18], v[17:18], v[21:22], v[17:18]
	v_fma_f64 v[21:22], -v[19:20], v[19:20], v[15:16]
	v_fma_f64 v[19:20], v[21:22], v[17:18], v[19:20]
	v_fma_f64 v[21:22], -v[19:20], v[19:20], v[15:16]
	v_fma_f64 v[17:18], v[21:22], v[17:18], v[19:20]
	v_ldexp_f64 v[19:20], v[17:18], s8
	v_mul_f64 v[17:18], v[13:14], s[6:7]
	v_cndmask_b32_e32 v16, v20, v16, vcc
	v_cndmask_b32_e32 v15, v19, v15, vcc
.LBB20_19:                              ;   in Loop: Header=BB20_12 Depth=1
	s_cmp_ge_i32 s15, s92
	s_cbranch_scc1 .LBB20_11
; %bb.20:                               ;   in Loop: Header=BB20_12 Depth=1
	v_cmp_gt_i32_e64 s[6:7], s88, v0
	s_ashr_i32 s87, s86, 31
	v_writelane_b32 v61, s6, 27
	s_lshl_b64 s[10:11], s[86:87], 3
	v_writelane_b32 v61, s7, 28
	s_add_u32 s6, s20, s10
	s_addc_u32 s7, s38, s11
	v_writelane_b32 v61, s6, 29
	v_writelane_b32 v61, s7, 30
	v_readlane_b32 s10, v61, 13
	v_readlane_b32 s11, v61, 14
	s_add_i32 s10, s88, s10
	s_ashr_i32 s11, s10, 31
	v_cvt_f64_u32_e32 v[19:20], v52
	s_lshl_b64 s[10:11], s[10:11], 3
	s_add_u32 s94, s36, s10
	s_mov_b32 s89, s21
	s_addc_u32 s95, s37, s11
	s_lshl_b64 s[10:11], s[88:89], 2
	s_add_u32 s34, s78, s10
	v_mul_f64 v[19:20], v[13:14], v[19:20]
	v_add_u32_e32 v21, s84, v0
	s_addc_u32 s35, s79, s11
	s_add_i32 s83, s88, -1
	s_lshl_b64 s[10:11], s[88:89], 3
	v_ashrrev_i32_e32 v22, 31, v21
	s_add_u32 s6, s40, s10
	v_lshlrev_b64 v[23:24], 3, v[21:22]
	s_addc_u32 s7, s41, s11
	v_writelane_b32 v61, s6, 31
	v_mov_b32_e32 v2, s38
	v_add_co_u32_e32 v21, vcc, s20, v23
	v_writelane_b32 v61, s7, 32
	v_cmp_lt_u32_e64 s[6:7], v0, v52
	v_addc_co_u32_e32 v22, vcc, v2, v24, vcc
	v_writelane_b32 v61, s6, 33
	v_mov_b32_e32 v2, s50
	v_add_co_u32_e32 v23, vcc, s39, v23
	v_cmp_ge_i32_e64 s[8:9], s88, v0
	v_cmp_lt_u32_e64 s[12:13], 2, v52
	v_writelane_b32 v61, s7, 34
	v_addc_co_u32_e32 v24, vcc, v2, v24, vcc
	s_sub_i32 s87, s86, s84
	s_mov_b32 s10, 0
	s_sub_i32 s89, 0, s84
	s_mul_i32 s11, s57, s15
	s_mov_b32 s50, s15
	v_writelane_b32 v61, s15, 35
	s_branch .LBB20_22
.LBB20_21:                              ;   in Loop: Header=BB20_22 Depth=2
	s_mov_b32 s18, s50
                                        ; implicit-def: $sgpr10
                                        ; implicit-def: $sgpr11
	s_and_b64 vcc, exec, s[16:17]
	s_cbranch_vccnz .LBB20_10
.LBB20_22:                              ;   Parent Loop BB20_12 Depth=1
                                        ; =>  This Loop Header: Depth=2
                                        ;       Child Loop BB20_32 Depth 3
                                        ;       Child Loop BB20_35 Depth 3
	;; [unrolled: 1-line block ×4, first 2 shown]
                                        ;         Child Loop BB20_68 Depth 4
                                        ;         Child Loop BB20_105 Depth 4
	;; [unrolled: 1-line block ×5, first 2 shown]
                                        ;           Child Loop BB20_124 Depth 5
                                        ;         Child Loop BB20_138 Depth 4
                                        ;           Child Loop BB20_139 Depth 5
                                        ;           Child Loop BB20_141 Depth 5
                                        ;         Child Loop BB20_146 Depth 4
                                        ;       Child Loop BB20_187 Depth 3
                                        ;       Child Loop BB20_224 Depth 3
	;; [unrolled: 1-line block ×4, first 2 shown]
	s_ashr_i32 s51, s50, 31
	s_lshl_b64 s[16:17], s[50:51], 2
	s_add_u32 s16, s64, s16
	s_addc_u32 s17, s65, s17
	global_load_dword v2, v1, s[16:17]
	s_mov_b64 s[16:17], -1
	s_waitcnt vmcnt(0)
	v_add_u32_e32 v2, -1, v2
	v_cmp_ne_u32_e32 vcc, s82, v2
	s_cbranch_vccnz .LBB20_21
; %bb.23:                               ;   in Loop: Header=BB20_22 Depth=2
	s_lshl_b64 s[16:17], s[50:51], 3
	s_add_u32 s16, s63, s16
	s_addc_u32 s17, s33, s17
	global_load_dwordx2 v[25:26], v1, s[16:17]
	s_mov_b64 s[16:17], -1
	s_and_b64 vcc, exec, s[44:45]
	s_cbranch_vccz .LBB20_27
; %bb.24:                               ;   in Loop: Header=BB20_22 Depth=2
	s_and_saveexec_b64 s[16:17], s[0:1]
	s_cbranch_execz .LBB20_26
; %bb.25:                               ;   in Loop: Header=BB20_22 Depth=2
	v_mov_b32_e32 v2, v50
	global_store_dwordx2 v1, v[1:2], s[36:37]
.LBB20_26:                              ;   in Loop: Header=BB20_22 Depth=2
	s_or_b64 exec, exec, s[16:17]
	s_waitcnt vmcnt(0)
	s_barrier
	s_mov_b64 s[16:17], 0
.LBB20_27:                              ;   in Loop: Header=BB20_22 Depth=2
	s_and_b64 vcc, exec, s[16:17]
	s_cbranch_vccz .LBB20_238
; %bb.28:                               ;   in Loop: Header=BB20_22 Depth=2
	s_cmp_lg_u32 s10, 0
	s_cselect_b64 s[38:39], -1, 0
	s_cmp_eq_u32 s10, 0
	s_cbranch_scc1 .LBB20_30
; %bb.29:                               ;   in Loop: Header=BB20_22 Depth=2
	s_waitcnt vmcnt(0)
	v_mul_f64 v[29:30], s[28:29], v[25:26]
	s_mov_b32 s6, 0
	s_mov_b32 s7, 0x40240000
	v_add_f64 v[31:32], v[25:26], -v[27:28]
	v_mul_f64 v[33:34], |v[29:30]|, s[6:7]
	v_fma_f64 v[29:30], |v[29:30]|, s[6:7], v[27:28]
	v_cmp_lt_f64_e32 vcc, v[31:32], v[33:34]
	v_cndmask_b32_e32 v26, v26, v30, vcc
	v_cndmask_b32_e32 v25, v25, v29, vcc
.LBB20_30:                              ;   in Loop: Header=BB20_22 Depth=2
	s_and_saveexec_b64 s[16:17], s[8:9]
	s_cbranch_execz .LBB20_33
; %bb.31:                               ;   in Loop: Header=BB20_22 Depth=2
	s_mul_i32 s18, s82, s92
	s_add_i32 s18, s50, s18
	v_lshl_or_b32 v2, s18, 8, v0
	v_add_u32_e32 v29, 1, v2
	s_mov_b32 s18, 0x40000001
	v_mul_hi_i32 v30, v29, s18
	v_sub_u32_e32 v31, 0x7ffffffe, v2
	v_sub_u32_e32 v32, 0xf7, v2
	s_mov_b32 s18, 0x7fffff07
	v_lshrrev_b32_e32 v33, 31, v30
	v_ashrrev_i32_e32 v30, 29, v30
	v_add_u32_e32 v30, v30, v33
	v_mul_lo_u32 v30, v30, s55
	v_max_u32_e32 v32, 1, v32
	v_cmp_gt_u32_e32 vcc, s18, v31
	s_mov_b32 s18, 0x7ffffffe
	v_cndmask_b32_e32 v31, v32, v31, vcc
	v_cmp_ne_u32_e32 vcc, s18, v2
	v_sub_u32_e32 v2, v29, v30
	v_mov_b32_e32 v30, v4
	v_cndmask_b32_e32 v31, 1, v31, vcc
	v_max_i32_e32 v32, 1, v2
	s_mov_b64 s[18:19], 0
	v_mov_b32_e32 v29, v3
	v_mov_b32_e32 v2, v0
.LBB20_32:                              ;   Parent Loop BB20_12 Depth=1
                                        ;     Parent Loop BB20_22 Depth=2
                                        ; =>    This Inner Loop Header: Depth=3
	s_mov_b32 s20, 0x5e4789c9
	s_mov_b32 s26, 0x4f7a09cd
	v_mul_hi_i32 v33, v32, s20
	v_mul_hi_i32 v34, v31, s26
	s_mov_b32 s27, 0xbc8f
	s_mov_b32 s51, 0x9ef4
	v_lshrrev_b32_e32 v35, 31, v33
	v_ashrrev_i32_e32 v33, 14, v33
	v_lshrrev_b32_e32 v36, 31, v34
	v_ashrrev_i32_e32 v34, 14, v34
	v_add_u32_e32 v33, v33, v35
	v_add_u32_e32 v34, v34, v36
	v_mul_i32_i24_e32 v35, 0xadc8, v33
	v_mul_i32_i24_e32 v36, 0xce26, v34
	v_sub_u32_e32 v32, v32, v35
	v_sub_u32_e32 v31, v31, v36
	v_mul_lo_u32 v32, v32, s27
	v_mul_lo_u32 v31, v31, s51
	s_movk_i32 s52, 0xf2b9
	s_movk_i32 s53, 0xf131
	v_mad_i32_i24 v32, v33, s52, v32
	v_mad_i32_i24 v31, v34, s53, v31
	v_ashrrev_i32_e32 v33, 31, v32
	v_ashrrev_i32_e32 v34, 31, v31
	v_and_b32_e32 v33, 0x7fffffff, v33
	v_and_b32_e32 v34, 0x7fffff07, v34
	v_add_u32_e32 v32, v33, v32
	v_add_u32_e32 v31, v34, v31
	v_sub_u32_e32 v33, v32, v31
	v_ashrrev_i32_e32 v34, 31, v33
	v_and_b32_e32 v34, 0x7fffffff, v34
	v_add_u32_e32 v33, v34, v33
	v_cvt_f64_i32_e32 v[33:34], v33
	v_add_u32_e32 v2, 0x100, v2
	v_div_scale_f64 v[35:36], s[26:27], s[76:77], s[76:77], v[33:34]
	v_rcp_f64_e32 v[37:38], v[35:36]
	v_fma_f64 v[39:40], -v[35:36], v[37:38], 1.0
	v_fma_f64 v[37:38], v[37:38], v[39:40], v[37:38]
	v_div_scale_f64 v[39:40], vcc, v[33:34], s[76:77], v[33:34]
	v_fma_f64 v[41:42], -v[35:36], v[37:38], 1.0
	v_fma_f64 v[37:38], v[37:38], v[41:42], v[37:38]
	v_mul_f64 v[41:42], v[39:40], v[37:38]
	v_fma_f64 v[35:36], -v[35:36], v[41:42], v[39:40]
	v_div_fmas_f64 v[35:36], v[35:36], v[37:38], v[41:42]
	v_cmp_lt_i32_e32 vcc, s88, v2
	s_or_b64 s[18:19], vcc, s[18:19]
	v_div_fixup_f64 v[33:34], v[35:36], s[76:77], v[33:34]
	global_store_dwordx2 v[29:30], v[33:34], off
	v_add_co_u32_e32 v29, vcc, 0x800, v29
	v_addc_co_u32_e32 v30, vcc, 0, v30, vcc
	s_andn2_b64 exec, exec, s[18:19]
	s_cbranch_execnz .LBB20_32
.LBB20_33:                              ;   in Loop: Header=BB20_22 Depth=2
	s_or_b64 exec, exec, s[16:17]
	v_readlane_b32 s6, v61, 27
	v_readlane_b32 s7, v61, 28
	s_and_saveexec_b64 s[26:27], s[6:7]
	s_cbranch_execz .LBB20_36
; %bb.34:                               ;   in Loop: Header=BB20_22 Depth=2
	v_mov_b32_e32 v30, v24
	v_mov_b32_e32 v32, v22
	;; [unrolled: 1-line block ×4, first 2 shown]
	s_mov_b64 s[60:61], 0
	v_mov_b32_e32 v29, v23
	v_mov_b32_e32 v31, v21
	;; [unrolled: 1-line block ×5, first 2 shown]
.LBB20_35:                              ;   Parent Loop BB20_12 Depth=1
                                        ;     Parent Loop BB20_22 Depth=2
                                        ; =>    This Inner Loop Header: Depth=3
	global_load_dwordx2 v[37:38], v[31:32], off
	v_add_u32_e32 v39, s59, v2
	v_ashrrev_i32_e32 v40, 31, v39
	v_add_u32_e32 v2, 0x100, v2
	v_lshlrev_b64 v[39:40], 3, v[39:40]
	v_cmp_le_i32_e32 vcc, s88, v2
	v_mov_b32_e32 v41, s37
	s_or_b64 s[60:61], vcc, s[60:61]
	v_add_co_u32_e32 v39, vcc, s36, v39
	v_addc_co_u32_e32 v40, vcc, v41, v40, vcc
	s_waitcnt vmcnt(0)
	global_store_dwordx2 v[35:36], v[37:38], off
	global_load_dwordx2 v[37:38], v[29:30], off
	v_add_co_u32_e32 v35, vcc, s14, v35
	v_addc_co_u32_e32 v36, vcc, 0, v36, vcc
	s_waitcnt vmcnt(0)
	global_store_dwordx2 v[39:40], v[37:38], off
	global_store_dwordx2 v[33:34], v[37:38], off
	v_add_co_u32_e32 v33, vcc, s14, v33
	s_mov_b64 s[16:17], vcc
	v_add_co_u32_e32 v31, vcc, 0x800, v31
	s_mov_b64 s[18:19], vcc
	v_addc_co_u32_e64 v34, vcc, 0, v34, s[16:17]
	v_add_co_u32_e32 v29, vcc, 0x800, v29
	v_addc_co_u32_e64 v32, s[16:17], 0, v32, s[18:19]
	v_addc_co_u32_e32 v30, vcc, 0, v30, vcc
	s_andn2_b64 exec, exec, s[60:61]
	s_cbranch_execnz .LBB20_35
.LBB20_36:                              ;   in Loop: Header=BB20_22 Depth=2
	s_or_b64 exec, exec, s[26:27]
	s_and_saveexec_b64 s[16:17], s[0:1]
	s_cbranch_execz .LBB20_38
; %bb.37:                               ;   in Loop: Header=BB20_22 Depth=2
	v_readlane_b32 s6, v61, 29
	v_readlane_b32 s7, v61, 30
	s_nop 4
	global_load_dwordx2 v[29:30], v1, s[6:7] offset:-8
	s_waitcnt vmcnt(0)
	global_store_dwordx2 v1, v[29:30], s[94:95]
.LBB20_38:                              ;   in Loop: Header=BB20_22 Depth=2
	s_mov_b32 s93, s64
	s_mov_b32 s15, s63
	s_or_b64 exec, exec, s[16:17]
	s_waitcnt vmcnt(0)
	s_barrier
	s_and_saveexec_b64 s[16:17], s[0:1]
	s_cbranch_execz .LBB20_65
; %bb.39:                               ;   in Loop: Header=BB20_22 Depth=2
	global_load_dwordx2 v[29:30], v1, s[40:41]
	v_readlane_b32 s18, v61, 19
	v_readlane_b32 s74, v61, 17
	;; [unrolled: 1-line block ×4, first 2 shown]
	s_mov_b64 s[6:7], s[80:81]
	s_mov_b32 s20, 1
	v_readlane_b32 s19, v61, 20
	v_readlane_b32 s75, v61, 18
	s_mov_b64 s[26:27], s[78:79]
	v_readlane_b32 s63, v61, 16
	v_readlane_b32 s61, v61, 12
	global_store_dword v1, v1, s[34:35]
	s_waitcnt vmcnt(1)
	v_add_f64 v[29:30], v[29:30], -v[25:26]
	global_store_dwordx2 v1, v[29:30], s[40:41]
	global_load_dwordx2 v[31:32], v1, s[42:43] offset:8
	s_waitcnt vmcnt(0)
	v_add_f64 v[29:30], |v[29:30]|, |v[31:32]|
	s_branch .LBB20_41
.LBB20_40:                              ;   in Loop: Header=BB20_41 Depth=3
	s_add_u32 s60, s60, 8
	s_addc_u32 s61, s61, 0
	s_add_u32 s62, s62, 8
	s_addc_u32 s63, s63, 0
	s_add_u32 s26, s26, 4
	s_addc_u32 s27, s27, 0
	s_add_u32 s74, s74, 8
	s_addc_u32 s75, s75, 0
	s_add_i32 s20, s20, 1
	s_add_u32 s18, s18, 8
	s_addc_u32 s19, s19, 0
	s_cmp_eq_u32 s87, s20
	s_cbranch_scc1 .LBB20_62
.LBB20_41:                              ;   Parent Loop BB20_12 Depth=1
                                        ;     Parent Loop BB20_22 Depth=2
                                        ; =>    This Inner Loop Header: Depth=3
	s_add_i32 s51, s20, -1
	s_add_u32 s80, s24, s18
	s_addc_u32 s81, s25, s19
	global_load_dwordx2 v[31:32], v1, s[80:81]
	s_add_u32 s66, s24, s74
	s_addc_u32 s67, s25, s75
	s_cmp_lt_u32 s51, s83
	s_cselect_b64 s[64:65], -1, 0
	s_cmp_ge_u32 s51, s83
	s_waitcnt vmcnt(0)
	v_add_f64 v[35:36], v[31:32], -v[25:26]
	global_store_dwordx2 v1, v[35:36], s[80:81]
	global_load_dwordx2 v[37:38], v1, s[66:67]
	s_waitcnt vmcnt(0)
	v_add_f64 v[31:32], |v[35:36]|, |v[37:38]|
	s_cbranch_scc1 .LBB20_43
; %bb.42:                               ;   in Loop: Header=BB20_41 Depth=3
	s_add_u32 s52, s24, s60
	s_addc_u32 s53, s25, s61
	global_load_dwordx2 v[33:34], v1, s[52:53] offset:16
	s_waitcnt vmcnt(0)
	v_add_f64 v[31:32], v[31:32], |v[33:34]|
.LBB20_43:                              ;   in Loop: Header=BB20_41 Depth=3
	global_load_dwordx2 v[41:42], v1, s[80:81] offset:-8
	s_waitcnt vmcnt(0)
	v_cmp_eq_f64_e32 vcc, 0, v[41:42]
	s_cbranch_vccnz .LBB20_54
; %bb.44:                               ;   in Loop: Header=BB20_41 Depth=3
	v_and_b32_e32 v34, 0x7fffffff, v42
	v_mov_b32_e32 v33, v41
	v_div_scale_f64 v[39:40], s[52:53], v[29:30], v[29:30], v[33:34]
	v_div_scale_f64 v[33:34], vcc, v[33:34], v[29:30], v[33:34]
	v_rcp_f64_e32 v[43:44], v[39:40]
	v_fma_f64 v[53:54], -v[39:40], v[43:44], 1.0
	v_fma_f64 v[43:44], v[43:44], v[53:54], v[43:44]
	v_fma_f64 v[53:54], -v[39:40], v[43:44], 1.0
	v_fma_f64 v[43:44], v[43:44], v[53:54], v[43:44]
	v_mul_f64 v[53:54], v[33:34], v[43:44]
	v_fma_f64 v[33:34], -v[39:40], v[53:54], v[33:34]
	v_div_fmas_f64 v[33:34], v[33:34], v[43:44], v[53:54]
	v_div_fixup_f64 v[33:34], v[33:34], v[29:30], |v[41:42]|
	v_cmp_neq_f64_e32 vcc, 0, v[37:38]
	s_cbranch_vccz .LBB20_55
.LBB20_45:                              ;   in Loop: Header=BB20_41 Depth=3
	v_and_b32_e32 v40, 0x7fffffff, v38
	v_mov_b32_e32 v39, v37
	v_div_scale_f64 v[43:44], s[52:53], v[31:32], v[31:32], v[39:40]
	v_div_scale_f64 v[39:40], vcc, v[39:40], v[31:32], v[39:40]
	s_mov_b64 s[52:53], -1
	v_rcp_f64_e32 v[53:54], v[43:44]
	v_fma_f64 v[55:56], -v[43:44], v[53:54], 1.0
	v_fma_f64 v[53:54], v[53:54], v[55:56], v[53:54]
	v_fma_f64 v[55:56], -v[43:44], v[53:54], 1.0
	v_fma_f64 v[53:54], v[53:54], v[55:56], v[53:54]
	v_mul_f64 v[55:56], v[39:40], v[53:54]
	v_fma_f64 v[39:40], -v[43:44], v[55:56], v[39:40]
	v_div_fmas_f64 v[39:40], v[39:40], v[53:54], v[55:56]
	v_div_fixup_f64 v[39:40], v[39:40], v[31:32], |v[37:38]|
	v_cmp_nle_f64_e32 vcc, v[39:40], v[33:34]
	s_cbranch_vccnz .LBB20_49
; %bb.46:                               ;   in Loop: Header=BB20_41 Depth=3
	v_div_scale_f64 v[43:44], s[52:53], v[41:42], v[41:42], v[37:38]
	s_add_u32 s52, s24, s60
	s_addc_u32 s53, s25, s61
	v_rcp_f64_e32 v[53:54], v[43:44]
	v_fma_f64 v[55:56], -v[43:44], v[53:54], 1.0
	v_fma_f64 v[53:54], v[53:54], v[55:56], v[53:54]
	v_div_scale_f64 v[55:56], vcc, v[37:38], v[41:42], v[37:38]
	v_fma_f64 v[57:58], -v[43:44], v[53:54], 1.0
	v_fma_f64 v[53:54], v[53:54], v[57:58], v[53:54]
	v_mul_f64 v[57:58], v[55:56], v[53:54]
	v_fma_f64 v[43:44], -v[43:44], v[57:58], v[55:56]
	v_div_fmas_f64 v[43:44], v[43:44], v[53:54], v[57:58]
	s_andn2_b64 vcc, exec, s[64:65]
	v_div_fixup_f64 v[43:44], v[43:44], v[41:42], v[37:38]
	global_store_dwordx2 v1, v[43:44], s[66:67]
	global_load_dwordx2 v[53:54], v1, s[80:81]
	global_load_dwordx2 v[55:56], v1, s[52:53] offset:8
	s_waitcnt vmcnt(0)
	v_fma_f64 v[43:44], -v[43:44], v[55:56], v[53:54]
	global_store_dword v1, v1, s[26:27]
	global_store_dwordx2 v1, v[43:44], s[80:81]
	s_cbranch_vccnz .LBB20_48
; %bb.47:                               ;   in Loop: Header=BB20_41 Depth=3
	s_add_u32 s52, s24, s62
	s_addc_u32 s53, s25, s63
	v_mov_b32_e32 v2, v1
	global_store_dwordx2 v1, v[1:2], s[52:53]
.LBB20_48:                              ;   in Loop: Header=BB20_41 Depth=3
	s_mov_b64 s[52:53], 0
.LBB20_49:                              ;   in Loop: Header=BB20_41 Depth=3
	v_mov_b32_e32 v44, v32
	s_andn2_b64 vcc, exec, s[52:53]
	v_mov_b32_e32 v43, v31
	s_cbranch_vccnz .LBB20_53
; %bb.50:                               ;   in Loop: Header=BB20_41 Depth=3
	v_div_scale_f64 v[43:44], s[52:53], v[37:38], v[37:38], v[41:42]
	s_add_u32 s52, s24, s60
	global_store_dwordx2 v1, v[37:38], s[80:81] offset:-8
	s_addc_u32 s53, s25, s61
	v_div_scale_f64 v[59:60], vcc, v[41:42], v[37:38], v[41:42]
	s_nop 0
	global_load_dwordx2 v[55:56], v1, s[52:53] offset:8
	v_rcp_f64_e32 v[53:54], v[43:44]
	global_store_dword v1, v49, s[26:27]
	v_fma_f64 v[57:58], -v[43:44], v[53:54], 1.0
	v_fma_f64 v[53:54], v[53:54], v[57:58], v[53:54]
	v_fma_f64 v[57:58], -v[43:44], v[53:54], 1.0
	v_fma_f64 v[53:54], v[53:54], v[57:58], v[53:54]
	v_mul_f64 v[57:58], v[59:60], v[53:54]
	v_fma_f64 v[43:44], -v[43:44], v[57:58], v[59:60]
	v_div_fmas_f64 v[43:44], v[43:44], v[53:54], v[57:58]
	s_andn2_b64 vcc, exec, s[64:65]
	v_div_fixup_f64 v[37:38], v[43:44], v[37:38], v[41:42]
	s_waitcnt vmcnt(1)
	v_fma_f64 v[41:42], -v[35:36], v[37:38], v[55:56]
	global_store_dwordx2 v1, v[41:42], s[80:81]
	s_cbranch_vccnz .LBB20_52
; %bb.51:                               ;   in Loop: Header=BB20_41 Depth=3
	global_load_dwordx2 v[41:42], v1, s[52:53] offset:16
	s_add_u32 s80, s24, s62
	s_addc_u32 s81, s25, s63
	s_waitcnt vmcnt(0)
	v_mul_f64 v[43:44], v[41:42], -v[37:38]
	global_store_dwordx2 v1, v[41:42], s[80:81]
	global_store_dwordx2 v1, v[43:44], s[52:53] offset:16
.LBB20_52:                              ;   in Loop: Header=BB20_41 Depth=3
	v_mov_b32_e32 v44, v30
	v_mov_b32_e32 v43, v29
	global_store_dwordx2 v1, v[35:36], s[52:53] offset:8
	global_store_dwordx2 v1, v[37:38], s[66:67]
.LBB20_53:                              ;   in Loop: Header=BB20_41 Depth=3
	v_mov_b32_e32 v29, v43
	v_mov_b32_e32 v30, v44
	s_cbranch_execz .LBB20_56
	s_branch .LBB20_59
.LBB20_54:                              ;   in Loop: Header=BB20_41 Depth=3
	v_mov_b32_e32 v33, 0
	v_mov_b32_e32 v34, 0
	v_cmp_neq_f64_e32 vcc, 0, v[37:38]
	s_cbranch_vccnz .LBB20_45
.LBB20_55:                              ;   in Loop: Header=BB20_41 Depth=3
                                        ; implicit-def: $vgpr39_vgpr40
                                        ; implicit-def: $vgpr29_vgpr30
.LBB20_56:                              ;   in Loop: Header=BB20_41 Depth=3
	s_andn2_b64 vcc, exec, s[64:65]
	global_store_dword v1, v1, s[26:27]
	s_cbranch_vccnz .LBB20_58
; %bb.57:                               ;   in Loop: Header=BB20_41 Depth=3
	s_add_u32 s52, s24, s62
	s_addc_u32 s53, s25, s63
	v_mov_b32_e32 v2, v1
	global_store_dwordx2 v1, v[1:2], s[52:53]
.LBB20_58:                              ;   in Loop: Header=BB20_41 Depth=3
	v_mov_b32_e32 v39, 0
	v_mov_b32_e32 v29, v31
	;; [unrolled: 1-line block ×4, first 2 shown]
.LBB20_59:                              ;   in Loop: Header=BB20_41 Depth=3
	v_max_f64 v[31:32], v[39:40], v[39:40]
	v_max_f64 v[33:34], v[33:34], v[33:34]
	;; [unrolled: 1-line block ×3, first 2 shown]
	v_cmp_nle_f64_e32 vcc, v[31:32], v[9:10]
	s_cbranch_vccnz .LBB20_40
; %bb.60:                               ;   in Loop: Header=BB20_41 Depth=3
	global_load_dword v2, v1, s[34:35]
	s_waitcnt vmcnt(0)
	v_cmp_ne_u32_e32 vcc, 0, v2
	s_cbranch_vccnz .LBB20_40
; %bb.61:                               ;   in Loop: Header=BB20_41 Depth=3
	v_mov_b32_e32 v2, s20
	global_store_dword v1, v2, s[34:35]
	s_branch .LBB20_40
.LBB20_62:                              ;   in Loop: Header=BB20_22 Depth=2
	v_readlane_b32 s18, v61, 31
	v_readlane_b32 s19, v61, 32
	v_mul_f64 v[29:30], v[9:10], v[29:30]
	s_mov_b64 s[80:81], s[6:7]
	s_nop 2
	global_load_dwordx2 v[31:32], v1, s[18:19]
	s_waitcnt vmcnt(0)
	v_cmp_le_f64_e64 s[18:19], |v[31:32]|, v[29:30]
	s_and_b64 vcc, exec, s[18:19]
	s_cbranch_vccz .LBB20_65
; %bb.63:                               ;   in Loop: Header=BB20_22 Depth=2
	global_load_dword v2, v1, s[34:35]
	s_waitcnt vmcnt(0)
	v_cmp_ne_u32_e32 vcc, 0, v2
	s_cbranch_vccnz .LBB20_65
; %bb.64:                               ;   in Loop: Header=BB20_22 Depth=2
	global_store_dword v1, v52, s[34:35]
.LBB20_65:                              ;   in Loop: Header=BB20_22 Depth=2
	s_or_b64 exec, exec, s[16:17]
	v_add_f64 v[27:28], v[25:26], -v[27:28]
	s_mov_b32 s51, 0
	s_mov_b32 s62, 0
	v_cmp_gt_f64_e64 s[74:75], |v[27:28]|, v[17:18]
.LBB20_66:                              ;   Parent Loop BB20_12 Depth=1
                                        ;     Parent Loop BB20_22 Depth=2
                                        ; =>    This Loop Header: Depth=3
                                        ;         Child Loop BB20_68 Depth 4
                                        ;         Child Loop BB20_105 Depth 4
	;; [unrolled: 1-line block ×5, first 2 shown]
                                        ;           Child Loop BB20_124 Depth 5
                                        ;         Child Loop BB20_138 Depth 4
                                        ;           Child Loop BB20_139 Depth 5
                                        ;           Child Loop BB20_141 Depth 5
                                        ;         Child Loop BB20_146 Depth 4
	v_mov_b32_e32 v27, 0
	v_mov_b32_e32 v28, 0
	v_bfrev_b32_e32 v2, -2
	s_and_saveexec_b64 s[26:27], s[8:9]
	s_cbranch_execz .LBB20_70
; %bb.67:                               ;   in Loop: Header=BB20_66 Depth=3
	v_mov_b32_e32 v27, 0
	v_mov_b32_e32 v30, v4
	;; [unrolled: 1-line block ×3, first 2 shown]
	v_bfrev_b32_e32 v2, -2
	s_mov_b64 s[60:61], 0
	v_mov_b32_e32 v29, v3
	v_mov_b32_e32 v31, v0
.LBB20_68:                              ;   Parent Loop BB20_12 Depth=1
                                        ;     Parent Loop BB20_22 Depth=2
                                        ;       Parent Loop BB20_66 Depth=3
                                        ; =>      This Inner Loop Header: Depth=4
	global_load_dwordx2 v[32:33], v[29:30], off
	v_add_co_u32_e32 v29, vcc, 0x800, v29
	v_cmp_eq_u32_e64 s[16:17], s55, v2
	v_add_u32_e32 v34, 1, v31
	v_add_u32_e32 v31, 0x100, v31
	v_addc_co_u32_e32 v30, vcc, 0, v30, vcc
	v_cmp_lt_i32_e64 s[18:19], s88, v31
	s_waitcnt vmcnt(0)
	v_cmp_lt_f64_e64 s[52:53], v[27:28], |v[32:33]|
	v_and_b32_e32 v33, 0x7fffffff, v33
	s_or_b64 vcc, s[52:53], s[16:17]
	v_cndmask_b32_e32 v28, v28, v33, vcc
	v_cndmask_b32_e32 v27, v27, v32, vcc
	s_or_b64 s[60:61], s[18:19], s[60:61]
	v_cndmask_b32_e32 v2, v2, v34, vcc
	s_andn2_b64 exec, exec, s[60:61]
	s_cbranch_execnz .LBB20_68
; %bb.69:                               ;   in Loop: Header=BB20_66 Depth=3
	s_or_b64 exec, exec, s[60:61]
.LBB20_70:                              ;   in Loop: Header=BB20_66 Depth=3
	s_or_b64 exec, exec, s[26:27]
	ds_write_b64 v46, v[27:28]
	ds_write_b32 v47, v2 offset:4096
	s_waitcnt vmcnt(0) lgkmcnt(0)
	s_barrier
	s_and_saveexec_b64 s[18:19], s[2:3]
	s_cbranch_execz .LBB20_76
; %bb.71:                               ;   in Loop: Header=BB20_66 Depth=3
	ds_read_b64 v[29:30], v46 offset:1024
	ds_read_b32 v31, v47 offset:4608
	s_waitcnt lgkmcnt(1)
	v_cmp_lt_f64_e64 s[26:27], v[27:28], v[29:30]
	v_cmp_nlt_f64_e32 vcc, v[27:28], v[29:30]
	s_and_saveexec_b64 s[52:53], vcc
	s_cbranch_execz .LBB20_73
; %bb.72:                               ;   in Loop: Header=BB20_66 Depth=3
	v_cmp_eq_f64_e32 vcc, v[27:28], v[29:30]
	s_waitcnt lgkmcnt(0)
	v_cmp_gt_i32_e64 s[16:17], v2, v31
	s_andn2_b64 s[26:27], s[26:27], exec
	s_and_b64 s[16:17], vcc, s[16:17]
	s_and_b64 s[16:17], s[16:17], exec
	s_or_b64 s[26:27], s[26:27], s[16:17]
.LBB20_73:                              ;   in Loop: Header=BB20_66 Depth=3
	s_or_b64 exec, exec, s[52:53]
	s_and_saveexec_b64 s[16:17], s[26:27]
	s_cbranch_execz .LBB20_75
; %bb.74:                               ;   in Loop: Header=BB20_66 Depth=3
	v_mov_b32_e32 v27, v29
	s_waitcnt lgkmcnt(0)
	v_mov_b32_e32 v2, v31
	v_mov_b32_e32 v28, v30
	ds_write_b64 v46, v[29:30]
	ds_write_b32 v47, v31 offset:4096
.LBB20_75:                              ;   in Loop: Header=BB20_66 Depth=3
	s_or_b64 exec, exec, s[16:17]
.LBB20_76:                              ;   in Loop: Header=BB20_66 Depth=3
	s_or_b64 exec, exec, s[18:19]
	s_waitcnt lgkmcnt(0)
	s_barrier
	s_and_saveexec_b64 s[26:27], s[4:5]
	s_cbranch_execz .LBB20_103
; %bb.77:                               ;   in Loop: Header=BB20_66 Depth=3
	ds_read_b64 v[29:30], v46 offset:512
	ds_read_b32 v31, v47 offset:4352
	s_waitcnt lgkmcnt(1)
	v_cmp_lt_f64_e64 s[18:19], v[27:28], v[29:30]
	v_cmp_nlt_f64_e32 vcc, v[27:28], v[29:30]
	s_and_saveexec_b64 s[52:53], vcc
	s_cbranch_execz .LBB20_79
; %bb.78:                               ;   in Loop: Header=BB20_66 Depth=3
	v_cmp_eq_f64_e32 vcc, v[27:28], v[29:30]
	s_waitcnt lgkmcnt(0)
	v_cmp_gt_i32_e64 s[16:17], v2, v31
	s_andn2_b64 s[18:19], s[18:19], exec
	s_and_b64 s[16:17], vcc, s[16:17]
	s_and_b64 s[16:17], s[16:17], exec
	s_or_b64 s[18:19], s[18:19], s[16:17]
.LBB20_79:                              ;   in Loop: Header=BB20_66 Depth=3
	s_or_b64 exec, exec, s[52:53]
	s_and_saveexec_b64 s[16:17], s[18:19]
	s_cbranch_execz .LBB20_81
; %bb.80:                               ;   in Loop: Header=BB20_66 Depth=3
	v_mov_b32_e32 v27, v29
	v_mov_b32_e32 v28, v30
	s_waitcnt lgkmcnt(0)
	v_mov_b32_e32 v2, v31
	ds_write_b64 v46, v[29:30]
	ds_write_b32 v47, v31 offset:4096
.LBB20_81:                              ;   in Loop: Header=BB20_66 Depth=3
	s_or_b64 exec, exec, s[16:17]
	ds_read_b64 v[29:30], v46 offset:256
	s_waitcnt lgkmcnt(1)
	ds_read_b32 v31, v47 offset:4224
	s_waitcnt lgkmcnt(1)
	v_cmp_lt_f64_e64 s[18:19], v[27:28], v[29:30]
	v_cmp_nlt_f64_e32 vcc, v[27:28], v[29:30]
	s_and_saveexec_b64 s[52:53], vcc
	s_cbranch_execz .LBB20_83
; %bb.82:                               ;   in Loop: Header=BB20_66 Depth=3
	v_cmp_eq_f64_e32 vcc, v[27:28], v[29:30]
	s_waitcnt lgkmcnt(0)
	v_cmp_gt_i32_e64 s[16:17], v2, v31
	s_andn2_b64 s[18:19], s[18:19], exec
	s_and_b64 s[16:17], vcc, s[16:17]
	s_and_b64 s[16:17], s[16:17], exec
	s_or_b64 s[18:19], s[18:19], s[16:17]
.LBB20_83:                              ;   in Loop: Header=BB20_66 Depth=3
	s_or_b64 exec, exec, s[52:53]
	s_and_saveexec_b64 s[16:17], s[18:19]
	s_cbranch_execz .LBB20_85
; %bb.84:                               ;   in Loop: Header=BB20_66 Depth=3
	v_mov_b32_e32 v27, v29
	v_mov_b32_e32 v28, v30
	s_waitcnt lgkmcnt(0)
	v_mov_b32_e32 v2, v31
	ds_write_b64 v46, v[29:30]
	ds_write_b32 v47, v31 offset:4096
.LBB20_85:                              ;   in Loop: Header=BB20_66 Depth=3
	s_or_b64 exec, exec, s[16:17]
	ds_read_b64 v[29:30], v46 offset:128
	s_waitcnt lgkmcnt(1)
	;; [unrolled: 29-line block ×5, first 2 shown]
	ds_read_b32 v31, v47 offset:4104
	s_waitcnt lgkmcnt(1)
	v_cmp_lt_f64_e64 s[18:19], v[27:28], v[29:30]
	v_cmp_nlt_f64_e32 vcc, v[27:28], v[29:30]
	s_and_saveexec_b64 s[52:53], vcc
	s_cbranch_execz .LBB20_99
; %bb.98:                               ;   in Loop: Header=BB20_66 Depth=3
	v_cmp_eq_f64_e32 vcc, v[27:28], v[29:30]
	s_waitcnt lgkmcnt(0)
	v_cmp_gt_i32_e64 s[16:17], v2, v31
	s_andn2_b64 s[18:19], s[18:19], exec
	s_and_b64 s[16:17], vcc, s[16:17]
	s_and_b64 s[16:17], s[16:17], exec
	s_or_b64 s[18:19], s[18:19], s[16:17]
.LBB20_99:                              ;   in Loop: Header=BB20_66 Depth=3
	s_or_b64 exec, exec, s[52:53]
	s_and_saveexec_b64 s[16:17], s[18:19]
	s_cbranch_execz .LBB20_101
; %bb.100:                              ;   in Loop: Header=BB20_66 Depth=3
	v_mov_b32_e32 v27, v29
	v_mov_b32_e32 v28, v30
	s_waitcnt lgkmcnt(0)
	v_mov_b32_e32 v2, v31
	ds_write_b64 v46, v[29:30]
	ds_write_b32 v47, v31 offset:4096
.LBB20_101:                             ;   in Loop: Header=BB20_66 Depth=3
	s_or_b64 exec, exec, s[16:17]
	ds_read_b64 v[29:30], v46 offset:8
	s_waitcnt lgkmcnt(0)
	v_cmp_eq_f64_e32 vcc, v[27:28], v[29:30]
	v_cmp_lt_f64_e64 s[16:17], v[27:28], v[29:30]
	ds_read_b32 v27, v47 offset:4100
	s_waitcnt lgkmcnt(0)
	v_cmp_gt_i32_e64 s[18:19], v2, v27
	s_and_b64 s[18:19], vcc, s[18:19]
	s_or_b64 s[16:17], s[16:17], s[18:19]
	s_and_b64 exec, exec, s[16:17]
	s_cbranch_execz .LBB20_103
; %bb.102:                              ;   in Loop: Header=BB20_66 Depth=3
	ds_write_b64 v46, v[29:30]
	ds_write_b32 v47, v27 offset:4096
.LBB20_103:                             ;   in Loop: Header=BB20_66 Depth=3
	s_or_b64 exec, exec, s[26:27]
	s_waitcnt lgkmcnt(0)
	s_barrier
	s_and_saveexec_b64 s[16:17], s[8:9]
	s_cbranch_execz .LBB20_106
; %bb.104:                              ;   in Loop: Header=BB20_66 Depth=3
	global_load_dwordx2 v[27:28], v1, s[94:95]
	v_mov_b32_e32 v2, s29
	v_mov_b32_e32 v30, s28
	s_waitcnt vmcnt(0)
	v_cmp_lt_f64_e64 vcc, s[28:29], |v[27:28]|
	v_and_b32_e32 v29, 0x7fffffff, v28
	v_cndmask_b32_e32 v28, v2, v29, vcc
	v_cndmask_b32_e32 v27, v30, v27, vcc
	v_mul_f64 v[27:28], v[19:20], v[27:28]
	ds_read_b64 v[29:30], v51
	v_mov_b32_e32 v2, v0
	s_waitcnt lgkmcnt(0)
	v_div_scale_f64 v[31:32], s[18:19], v[29:30], v[29:30], v[27:28]
	v_div_scale_f64 v[37:38], vcc, v[27:28], v[29:30], v[27:28]
	s_mov_b64 s[18:19], 0
	v_rcp_f64_e32 v[33:34], v[31:32]
	v_fma_f64 v[35:36], -v[31:32], v[33:34], 1.0
	v_fma_f64 v[33:34], v[33:34], v[35:36], v[33:34]
	v_fma_f64 v[35:36], -v[31:32], v[33:34], 1.0
	v_fma_f64 v[33:34], v[33:34], v[35:36], v[33:34]
	v_mul_f64 v[35:36], v[37:38], v[33:34]
	v_fma_f64 v[31:32], -v[31:32], v[35:36], v[37:38]
	v_div_fmas_f64 v[31:32], v[31:32], v[33:34], v[35:36]
	v_div_fixup_f64 v[27:28], v[31:32], v[29:30], v[27:28]
	v_mov_b32_e32 v30, v4
	v_mov_b32_e32 v29, v3
.LBB20_105:                             ;   Parent Loop BB20_12 Depth=1
                                        ;     Parent Loop BB20_22 Depth=2
                                        ;       Parent Loop BB20_66 Depth=3
                                        ; =>      This Inner Loop Header: Depth=4
	global_load_dwordx2 v[31:32], v[29:30], off
	v_add_u32_e32 v2, 0x100, v2
	v_cmp_lt_i32_e32 vcc, s88, v2
	s_or_b64 s[18:19], vcc, s[18:19]
	s_waitcnt vmcnt(0)
	v_mul_f64 v[31:32], v[27:28], v[31:32]
	global_store_dwordx2 v[29:30], v[31:32], off
	v_add_co_u32_e32 v29, vcc, 0x800, v29
	v_addc_co_u32_e32 v30, vcc, 0, v30, vcc
	s_andn2_b64 exec, exec, s[18:19]
	s_cbranch_execnz .LBB20_105
.LBB20_106:                             ;   in Loop: Header=BB20_66 Depth=3
	s_or_b64 exec, exec, s[16:17]
	s_waitcnt vmcnt(0)
	s_barrier
	s_and_saveexec_b64 s[18:19], s[0:1]
	s_cbranch_execz .LBB20_134
; %bb.107:                              ;   in Loop: Header=BB20_66 Depth=3
	global_load_dwordx4 v[27:30], v1, s[40:41]
	global_load_dwordx2 v[31:32], v1, s[42:43] offset:8
	s_andn2_b64 vcc, exec, s[12:13]
	s_mov_b64 s[16:17], s[48:49]
	s_mov_b64 s[26:27], s[68:69]
	s_mov_b32 s20, s83
	s_waitcnt vmcnt(1)
	v_max_f64 v[29:30], |v[29:30]|, |v[29:30]|
	s_waitcnt vmcnt(0)
	v_max_f64 v[31:32], |v[31:32]|, |v[31:32]|
	v_max_f64 v[27:28], |v[27:28]|, |v[27:28]|
	v_max_f64 v[29:30], v[29:30], v[31:32]
	v_max_f64 v[27:28], v[27:28], v[29:30]
	s_cbranch_vccnz .LBB20_109
.LBB20_108:                             ;   Parent Loop BB20_12 Depth=1
                                        ;     Parent Loop BB20_22 Depth=2
                                        ;       Parent Loop BB20_66 Depth=3
                                        ; =>      This Inner Loop Header: Depth=4
	s_add_u32 s52, s26, s73
	s_addc_u32 s53, s27, s58
	global_load_dwordx2 v[29:30], v1, s[26:27]
	global_load_dwordx2 v[31:32], v1, s[16:17]
	global_load_dwordx2 v[33:34], v1, s[52:53]
	v_max_f64 v[27:28], v[27:28], v[27:28]
	s_add_i32 s20, s20, -1
	s_add_u32 s26, s26, 8
	s_addc_u32 s27, s27, 0
	s_add_u32 s16, s16, 8
	s_addc_u32 s17, s17, 0
	s_cmp_lg_u32 s20, 0
	s_waitcnt vmcnt(2)
	v_max_f64 v[29:30], |v[29:30]|, |v[29:30]|
	s_waitcnt vmcnt(1)
	v_max_f64 v[31:32], |v[31:32]|, |v[31:32]|
	;; [unrolled: 2-line block ×3, first 2 shown]
	v_max_f64 v[27:28], v[27:28], v[29:30]
	v_max_f64 v[29:30], v[33:34], v[31:32]
	;; [unrolled: 1-line block ×3, first 2 shown]
	s_cbranch_scc1 .LBB20_108
.LBB20_109:                             ;   in Loop: Header=BB20_66 Depth=3
	s_mov_b32 s20, s88
	s_mov_b64 s[16:17], s[78:79]
	s_mov_b64 s[26:27], s[46:47]
	;; [unrolled: 1-line block ×3, first 2 shown]
	s_branch .LBB20_111
.LBB20_110:                             ;   in Loop: Header=BB20_111 Depth=4
	s_add_u32 s60, s60, 8
	s_addc_u32 s61, s61, 0
	s_add_u32 s26, s26, 8
	s_addc_u32 s27, s27, 0
	;; [unrolled: 2-line block ×3, first 2 shown]
	s_add_i32 s20, s20, -1
	s_cmp_lg_u32 s20, 0
	s_cbranch_scc0 .LBB20_115
.LBB20_111:                             ;   Parent Loop BB20_12 Depth=1
                                        ;     Parent Loop BB20_22 Depth=2
                                        ;       Parent Loop BB20_66 Depth=3
                                        ; =>      This Inner Loop Header: Depth=4
	global_load_dword v2, v1, s[16:17]
	s_waitcnt vmcnt(0)
	v_cmp_ne_u32_e32 vcc, 0, v2
	s_cbranch_vccz .LBB20_113
; %bb.112:                              ;   in Loop: Header=BB20_111 Depth=4
	global_load_dwordx4 v[29:32], v1, s[60:61] offset:-8
	s_waitcnt vmcnt(0)
	global_store_dwordx2 v1, v[31:32], s[60:61] offset:-8
	global_load_dwordx2 v[33:34], v1, s[26:27]
	s_waitcnt vmcnt(0)
	v_fma_f64 v[29:30], -v[31:32], v[33:34], v[29:30]
	global_store_dwordx2 v1, v[29:30], s[60:61]
	s_cbranch_execnz .LBB20_110
	s_branch .LBB20_114
.LBB20_113:                             ;   in Loop: Header=BB20_111 Depth=4
.LBB20_114:                             ;   in Loop: Header=BB20_111 Depth=4
	global_load_dwordx4 v[29:32], v1, s[60:61] offset:-8
	global_load_dwordx2 v[33:34], v1, s[26:27]
	s_waitcnt vmcnt(0)
	v_fma_f64 v[29:30], -v[33:34], v[29:30], v[31:32]
	global_store_dwordx2 v1, v[29:30], s[60:61]
	s_branch .LBB20_110
.LBB20_115:                             ;   in Loop: Header=BB20_66 Depth=3
	v_mul_f64 v[27:28], s[28:29], v[27:28]
	v_cmp_eq_f64_e32 vcc, 0, v[27:28]
	v_readfirstlane_b32 s20, v28
	v_readfirstlane_b32 s26, v27
	s_and_b64 s[16:17], vcc, exec
	s_cselect_b32 s63, s29, s20
	s_cselect_b32 s64, s28, s26
	s_and_b32 s65, s63, 0x7fffffff
	s_mov_b32 s66, s64
	s_mov_b32 s20, s88
	s_branch .LBB20_118
.LBB20_116:                             ;   in Loop: Header=BB20_118 Depth=4
	v_mov_b32_e32 v29, v37
	v_mov_b32_e32 v30, v38
.LBB20_117:                             ;   in Loop: Header=BB20_118 Depth=4
	v_div_scale_f64 v[31:32], s[16:17], v[29:30], v[29:30], v[27:28]
	s_add_i32 s16, s20, -1
	s_cmp_gt_i32 s20, 0
	s_mov_b32 s20, s16
	v_rcp_f64_e32 v[33:34], v[31:32]
	v_fma_f64 v[35:36], -v[31:32], v[33:34], 1.0
	v_fma_f64 v[33:34], v[33:34], v[35:36], v[33:34]
	v_div_scale_f64 v[35:36], vcc, v[27:28], v[29:30], v[27:28]
	v_fma_f64 v[37:38], -v[31:32], v[33:34], 1.0
	v_fma_f64 v[33:34], v[33:34], v[37:38], v[33:34]
	v_mul_f64 v[37:38], v[35:36], v[33:34]
	v_fma_f64 v[31:32], -v[31:32], v[37:38], v[35:36]
	v_div_fmas_f64 v[31:32], v[31:32], v[33:34], v[37:38]
	v_div_fixup_f64 v[27:28], v[31:32], v[29:30], v[27:28]
	global_store_dwordx2 v1, v[27:28], s[26:27]
	s_cbranch_scc0 .LBB20_134
.LBB20_118:                             ;   Parent Loop BB20_12 Depth=1
                                        ;     Parent Loop BB20_22 Depth=2
                                        ;       Parent Loop BB20_66 Depth=3
                                        ; =>      This Loop Header: Depth=4
                                        ;           Child Loop BB20_124 Depth 5
	s_lshl_b64 s[16:17], s[20:21], 3
	s_add_u32 s26, s36, s16
	s_addc_u32 s27, s37, s17
	global_load_dwordx2 v[27:28], v1, s[26:27]
	s_cmp_ge_i32 s20, s88
	s_cbranch_scc1 .LBB20_120
; %bb.119:                              ;   in Loop: Header=BB20_118 Depth=4
	s_add_u32 s52, s42, s16
	s_addc_u32 s53, s43, s17
	global_load_dwordx2 v[29:30], v1, s[52:53] offset:8
	global_load_dwordx2 v[31:32], v1, s[26:27] offset:8
	s_waitcnt vmcnt(0)
	v_fma_f64 v[27:28], -v[29:30], v[31:32], v[27:28]
.LBB20_120:                             ;   in Loop: Header=BB20_118 Depth=4
	s_cmp_ge_i32 s20, s83
	s_cbranch_scc1 .LBB20_122
; %bb.121:                              ;   in Loop: Header=BB20_118 Depth=4
	s_add_u32 s52, s48, s16
	s_addc_u32 s53, s49, s17
	global_load_dwordx2 v[29:30], v1, s[52:53]
	global_load_dwordx2 v[31:32], v1, s[26:27] offset:16
	s_waitcnt vmcnt(0)
	v_fma_f64 v[27:28], -v[29:30], v[31:32], v[27:28]
.LBB20_122:                             ;   in Loop: Header=BB20_118 Depth=4
	s_add_u32 s16, s40, s16
	s_addc_u32 s17, s41, s17
	global_load_dwordx2 v[29:30], v1, s[16:17]
	s_waitcnt vmcnt(0)
	v_cmp_nlt_f64_e64 s[16:17], |v[29:30]|, 1.0
	s_and_b64 vcc, exec, s[16:17]
	s_cbranch_vccnz .LBB20_117
; %bb.123:                              ;   in Loop: Header=BB20_118 Depth=4
	v_cmp_nle_f64_e32 vcc, 0, v[29:30]
	v_mul_f64 v[31:32], s[30:31], |v[27:28]|
	s_xor_b32 s52, s65, 0x80000000
	s_and_b32 s53, s63, 0x7fffffff
	v_and_b32_e32 v36, 0x7fffffff, v30
	v_mov_b32_e32 v35, v29
	s_and_b64 s[16:17], vcc, exec
	s_cselect_b32 s17, s52, s53
	s_cselect_b32 s16, s66, s64
	v_mov_b32_e32 v34, s17
	v_mov_b32_e32 v33, s16
.LBB20_124:                             ;   Parent Loop BB20_12 Depth=1
                                        ;     Parent Loop BB20_22 Depth=2
                                        ;       Parent Loop BB20_66 Depth=3
                                        ;         Parent Loop BB20_118 Depth=4
                                        ; =>        This Inner Loop Header: Depth=5
	v_cmp_ngt_f64_e32 vcc, s[30:31], v[35:36]
	s_mov_b64 s[16:17], -1
	s_mov_b64 s[52:53], 0
	s_mov_b64 s[60:61], -1
	s_cbranch_vccnz .LBB20_128
; %bb.125:                              ;   in Loop: Header=BB20_124 Depth=5
	s_andn2_b64 vcc, exec, s[60:61]
	s_cbranch_vccz .LBB20_129
.LBB20_126:                             ;   in Loop: Header=BB20_124 Depth=5
	s_andn2_b64 vcc, exec, s[52:53]
	s_cbranch_vccnz .LBB20_130
.LBB20_127:                             ;   in Loop: Header=BB20_124 Depth=5
	v_add_f64 v[37:38], v[29:30], v[33:34]
	v_add_f64 v[33:34], v[33:34], v[33:34]
	s_mov_b64 s[16:17], -1
	v_cmp_nlt_f64_e64 s[52:53], |v[37:38]|, 1.0
	v_and_b32_e32 v36, 0x7fffffff, v38
	v_mov_b32_e32 v35, v37
	s_andn2_b64 vcc, exec, s[52:53]
	s_cbranch_vccnz .LBB20_131
	s_branch .LBB20_132
.LBB20_128:                             ;   in Loop: Header=BB20_124 Depth=5
	v_mul_f64 v[37:38], v[11:12], v[35:36]
	v_cmp_gt_f64_e64 s[52:53], |v[27:28]|, v[37:38]
	s_cbranch_execnz .LBB20_126
.LBB20_129:                             ;   in Loop: Header=BB20_124 Depth=5
	v_cmp_eq_f64_e32 vcc, 0, v[29:30]
	v_cmp_gt_f64_e64 s[16:17], v[31:32], v[35:36]
	s_or_b64 s[52:53], vcc, s[16:17]
	s_mov_b64 s[16:17], 0
	s_andn2_b64 vcc, exec, s[52:53]
	s_cbranch_vccz .LBB20_127
.LBB20_130:                             ;   in Loop: Header=BB20_118 Depth=4
	v_mov_b32_e32 v38, v30
                                        ; implicit-def: $vgpr33_vgpr34
                                        ; implicit-def: $vgpr35_vgpr36
	v_mov_b32_e32 v37, v29
	s_branch .LBB20_132
.LBB20_131:                             ;   in Loop: Header=BB20_124 Depth=5
	v_mov_b32_e32 v29, v37
	v_mov_b32_e32 v30, v38
	s_branch .LBB20_124
.LBB20_132:                             ;   in Loop: Header=BB20_118 Depth=4
	s_andn2_b64 vcc, exec, s[16:17]
	s_cbranch_vccz .LBB20_116
; %bb.133:                              ;   in Loop: Header=BB20_118 Depth=4
	v_mul_f64 v[27:28], v[11:12], v[27:28]
	v_mul_f64 v[37:38], v[11:12], v[29:30]
	s_branch .LBB20_116
.LBB20_134:                             ;   in Loop: Header=BB20_66 Depth=3
	s_or_b64 exec, exec, s[18:19]
	s_andn2_b64 vcc, exec, s[38:39]
	s_waitcnt vmcnt(0)
	s_barrier
	s_cbranch_vccnz .LBB20_144
; %bb.135:                              ;   in Loop: Header=BB20_66 Depth=3
	s_and_b64 s[16:17], s[74:75], exec
	s_cselect_b32 s20, s50, s85
	s_cmp_eq_u32 s20, s50
	s_mov_b32 s85, s50
	s_cbranch_scc1 .LBB20_144
; %bb.136:                              ;   in Loop: Header=BB20_66 Depth=3
	s_cmp_lt_i32 s20, s50
	s_cselect_b64 s[16:17], -1, 0
	s_and_b64 s[18:19], s[0:1], s[16:17]
	s_and_saveexec_b64 s[16:17], s[18:19]
	s_cbranch_execz .LBB20_143
; %bb.137:                              ;   in Loop: Header=BB20_66 Depth=3
	s_mul_i32 s18, s57, s20
	s_add_i32 s52, s84, s18
	s_mov_b32 s53, s20
.LBB20_138:                             ;   Parent Loop BB20_12 Depth=1
                                        ;     Parent Loop BB20_22 Depth=2
                                        ;       Parent Loop BB20_66 Depth=3
                                        ; =>      This Loop Header: Depth=4
                                        ;           Child Loop BB20_139 Depth 5
                                        ;           Child Loop BB20_141 Depth 5
	v_mov_b32_e32 v27, 0
	v_mov_b32_e32 v28, 0
	s_mov_b64 s[18:19], s[36:37]
	s_mov_b32 s26, s52
	s_mov_b32 s60, s87
.LBB20_139:                             ;   Parent Loop BB20_12 Depth=1
                                        ;     Parent Loop BB20_22 Depth=2
                                        ;       Parent Loop BB20_66 Depth=3
                                        ;         Parent Loop BB20_138 Depth=4
                                        ; =>        This Inner Loop Header: Depth=5
	s_ashr_i32 s27, s26, 31
	s_lshl_b64 s[64:65], s[26:27], 3
	s_add_u32 s64, s56, s64
	s_addc_u32 s65, s72, s65
	global_load_dwordx2 v[29:30], v1, s[18:19]
	global_load_dwordx2 v[31:32], v1, s[64:65]
	s_add_i32 s60, s60, -1
	s_add_i32 s26, s26, 1
	s_add_u32 s18, s18, 8
	s_addc_u32 s19, s19, 0
	s_cmp_lg_u32 s60, 0
	s_waitcnt vmcnt(0)
	v_fma_f64 v[27:28], v[29:30], v[31:32], v[27:28]
	s_cbranch_scc1 .LBB20_139
; %bb.140:                              ;   in Loop: Header=BB20_138 Depth=4
	s_mov_b32 s26, 0
	s_mov_b64 s[18:19], s[36:37]
.LBB20_141:                             ;   Parent Loop BB20_12 Depth=1
                                        ;     Parent Loop BB20_22 Depth=2
                                        ;       Parent Loop BB20_66 Depth=3
                                        ;         Parent Loop BB20_138 Depth=4
                                        ; =>        This Inner Loop Header: Depth=5
	s_add_i32 s60, s52, s26
	s_ashr_i32 s61, s60, 31
	s_lshl_b64 s[60:61], s[60:61], 3
	s_add_u32 s60, s56, s60
	s_addc_u32 s61, s72, s61
	global_load_dwordx2 v[29:30], v1, s[18:19]
	global_load_dwordx2 v[31:32], v1, s[60:61]
	s_add_i32 s26, s26, 1
	s_waitcnt vmcnt(0)
	v_fma_f64 v[29:30], -v[27:28], v[31:32], v[29:30]
	global_store_dwordx2 v1, v[29:30], s[18:19]
	s_add_u32 s18, s18, 8
	s_addc_u32 s19, s19, 0
	s_cmp_lg_u32 s87, s26
	s_cbranch_scc1 .LBB20_141
; %bb.142:                              ;   in Loop: Header=BB20_138 Depth=4
	s_add_i32 s53, s53, 1
	s_add_i32 s52, s52, s57
	s_cmp_lt_i32 s53, s50
	s_cbranch_scc1 .LBB20_138
.LBB20_143:                             ;   in Loop: Header=BB20_66 Depth=3
	s_or_b64 exec, exec, s[16:17]
	s_mov_b32 s85, s20
	s_waitcnt vmcnt(0)
	s_barrier
.LBB20_144:                             ;   in Loop: Header=BB20_66 Depth=3
	v_mov_b32_e32 v27, 0
	v_mov_b32_e32 v28, 0
	v_bfrev_b32_e32 v2, -2
	s_and_saveexec_b64 s[26:27], s[8:9]
	s_cbranch_execz .LBB20_148
; %bb.145:                              ;   in Loop: Header=BB20_66 Depth=3
	v_mov_b32_e32 v27, 0
	v_mov_b32_e32 v30, v4
	;; [unrolled: 1-line block ×3, first 2 shown]
	v_bfrev_b32_e32 v2, -2
	s_mov_b64 s[60:61], 0
	v_mov_b32_e32 v29, v3
	v_mov_b32_e32 v31, v0
.LBB20_146:                             ;   Parent Loop BB20_12 Depth=1
                                        ;     Parent Loop BB20_22 Depth=2
                                        ;       Parent Loop BB20_66 Depth=3
                                        ; =>      This Inner Loop Header: Depth=4
	global_load_dwordx2 v[32:33], v[29:30], off
	v_add_co_u32_e32 v29, vcc, 0x800, v29
	v_cmp_eq_u32_e64 s[16:17], s55, v2
	v_add_u32_e32 v34, 1, v31
	v_add_u32_e32 v31, 0x100, v31
	v_addc_co_u32_e32 v30, vcc, 0, v30, vcc
	v_cmp_lt_i32_e64 s[18:19], s88, v31
	s_waitcnt vmcnt(0)
	v_cmp_lt_f64_e64 s[52:53], v[27:28], |v[32:33]|
	v_and_b32_e32 v33, 0x7fffffff, v33
	s_or_b64 vcc, s[52:53], s[16:17]
	v_cndmask_b32_e32 v28, v28, v33, vcc
	v_cndmask_b32_e32 v27, v27, v32, vcc
	s_or_b64 s[60:61], s[18:19], s[60:61]
	v_cndmask_b32_e32 v2, v2, v34, vcc
	s_andn2_b64 exec, exec, s[60:61]
	s_cbranch_execnz .LBB20_146
; %bb.147:                              ;   in Loop: Header=BB20_66 Depth=3
	s_or_b64 exec, exec, s[60:61]
.LBB20_148:                             ;   in Loop: Header=BB20_66 Depth=3
	s_or_b64 exec, exec, s[26:27]
	ds_write_b64 v46, v[27:28]
	ds_write_b32 v47, v2 offset:4096
	s_waitcnt lgkmcnt(0)
	s_barrier
	s_and_saveexec_b64 s[18:19], s[2:3]
	s_cbranch_execz .LBB20_154
; %bb.149:                              ;   in Loop: Header=BB20_66 Depth=3
	ds_read_b64 v[29:30], v46 offset:1024
	ds_read_b32 v31, v47 offset:4608
	s_waitcnt lgkmcnt(1)
	v_cmp_lt_f64_e64 s[26:27], v[27:28], v[29:30]
	v_cmp_nlt_f64_e32 vcc, v[27:28], v[29:30]
	s_and_saveexec_b64 s[52:53], vcc
	s_cbranch_execz .LBB20_151
; %bb.150:                              ;   in Loop: Header=BB20_66 Depth=3
	v_cmp_eq_f64_e32 vcc, v[27:28], v[29:30]
	s_waitcnt lgkmcnt(0)
	v_cmp_gt_i32_e64 s[16:17], v2, v31
	s_andn2_b64 s[26:27], s[26:27], exec
	s_and_b64 s[16:17], vcc, s[16:17]
	s_and_b64 s[16:17], s[16:17], exec
	s_or_b64 s[26:27], s[26:27], s[16:17]
.LBB20_151:                             ;   in Loop: Header=BB20_66 Depth=3
	s_or_b64 exec, exec, s[52:53]
	s_and_saveexec_b64 s[16:17], s[26:27]
	s_cbranch_execz .LBB20_153
; %bb.152:                              ;   in Loop: Header=BB20_66 Depth=3
	v_mov_b32_e32 v27, v29
	s_waitcnt lgkmcnt(0)
	v_mov_b32_e32 v2, v31
	v_mov_b32_e32 v28, v30
	ds_write_b64 v46, v[29:30]
	ds_write_b32 v47, v31 offset:4096
.LBB20_153:                             ;   in Loop: Header=BB20_66 Depth=3
	s_or_b64 exec, exec, s[16:17]
.LBB20_154:                             ;   in Loop: Header=BB20_66 Depth=3
	s_or_b64 exec, exec, s[18:19]
	s_waitcnt lgkmcnt(0)
	s_barrier
	s_and_saveexec_b64 s[26:27], s[4:5]
	s_cbranch_execz .LBB20_181
; %bb.155:                              ;   in Loop: Header=BB20_66 Depth=3
	ds_read_b64 v[29:30], v46 offset:512
	ds_read_b32 v31, v47 offset:4352
	s_waitcnt lgkmcnt(1)
	v_cmp_lt_f64_e64 s[18:19], v[27:28], v[29:30]
	v_cmp_nlt_f64_e32 vcc, v[27:28], v[29:30]
	s_and_saveexec_b64 s[52:53], vcc
	s_cbranch_execz .LBB20_157
; %bb.156:                              ;   in Loop: Header=BB20_66 Depth=3
	v_cmp_eq_f64_e32 vcc, v[27:28], v[29:30]
	s_waitcnt lgkmcnt(0)
	v_cmp_gt_i32_e64 s[16:17], v2, v31
	s_andn2_b64 s[18:19], s[18:19], exec
	s_and_b64 s[16:17], vcc, s[16:17]
	s_and_b64 s[16:17], s[16:17], exec
	s_or_b64 s[18:19], s[18:19], s[16:17]
.LBB20_157:                             ;   in Loop: Header=BB20_66 Depth=3
	s_or_b64 exec, exec, s[52:53]
	s_and_saveexec_b64 s[16:17], s[18:19]
	s_cbranch_execz .LBB20_159
; %bb.158:                              ;   in Loop: Header=BB20_66 Depth=3
	v_mov_b32_e32 v27, v29
	v_mov_b32_e32 v28, v30
	s_waitcnt lgkmcnt(0)
	v_mov_b32_e32 v2, v31
	ds_write_b64 v46, v[29:30]
	ds_write_b32 v47, v31 offset:4096
.LBB20_159:                             ;   in Loop: Header=BB20_66 Depth=3
	s_or_b64 exec, exec, s[16:17]
	ds_read_b64 v[29:30], v46 offset:256
	s_waitcnt lgkmcnt(1)
	ds_read_b32 v31, v47 offset:4224
	s_waitcnt lgkmcnt(1)
	v_cmp_lt_f64_e64 s[18:19], v[27:28], v[29:30]
	v_cmp_nlt_f64_e32 vcc, v[27:28], v[29:30]
	s_and_saveexec_b64 s[52:53], vcc
	s_cbranch_execz .LBB20_161
; %bb.160:                              ;   in Loop: Header=BB20_66 Depth=3
	v_cmp_eq_f64_e32 vcc, v[27:28], v[29:30]
	s_waitcnt lgkmcnt(0)
	v_cmp_gt_i32_e64 s[16:17], v2, v31
	s_andn2_b64 s[18:19], s[18:19], exec
	s_and_b64 s[16:17], vcc, s[16:17]
	s_and_b64 s[16:17], s[16:17], exec
	s_or_b64 s[18:19], s[18:19], s[16:17]
.LBB20_161:                             ;   in Loop: Header=BB20_66 Depth=3
	s_or_b64 exec, exec, s[52:53]
	s_and_saveexec_b64 s[16:17], s[18:19]
	s_cbranch_execz .LBB20_163
; %bb.162:                              ;   in Loop: Header=BB20_66 Depth=3
	v_mov_b32_e32 v27, v29
	v_mov_b32_e32 v28, v30
	s_waitcnt lgkmcnt(0)
	v_mov_b32_e32 v2, v31
	ds_write_b64 v46, v[29:30]
	ds_write_b32 v47, v31 offset:4096
.LBB20_163:                             ;   in Loop: Header=BB20_66 Depth=3
	s_or_b64 exec, exec, s[16:17]
	ds_read_b64 v[29:30], v46 offset:128
	s_waitcnt lgkmcnt(1)
	;; [unrolled: 29-line block ×6, first 2 shown]
	v_cmp_eq_f64_e32 vcc, v[27:28], v[29:30]
	v_cmp_lt_f64_e64 s[16:17], v[27:28], v[29:30]
	ds_read_b32 v27, v47 offset:4100
	s_waitcnt lgkmcnt(0)
	v_cmp_gt_i32_e64 s[18:19], v2, v27
	s_and_b64 s[18:19], vcc, s[18:19]
	s_or_b64 s[16:17], s[16:17], s[18:19]
	s_and_b64 exec, exec, s[16:17]
	s_cbranch_execz .LBB20_181
; %bb.180:                              ;   in Loop: Header=BB20_66 Depth=3
	ds_write_b64 v46, v[29:30]
	ds_write_b32 v47, v27 offset:4096
.LBB20_181:                             ;   in Loop: Header=BB20_66 Depth=3
	s_or_b64 exec, exec, s[26:27]
	s_waitcnt lgkmcnt(0)
	s_barrier
	ds_read_b64 v[27:28], v51
	s_add_i32 s18, s62, 1
	s_waitcnt lgkmcnt(0)
	v_cmp_ge_f64_e32 vcc, v[27:28], v[15:16]
	v_cndmask_b32_e64 v2, 0, 1, vcc
	v_readfirstlane_b32 s16, v2
	s_add_i32 s51, s51, s16
	s_cmp_lt_u32 s62, 4
	s_cselect_b64 s[26:27], -1, 0
	s_cmp_lt_u32 s51, 2
	s_cselect_b64 s[16:17], -1, 0
	s_and_b64 s[26:27], s[26:27], s[16:17]
	s_and_b64 vcc, exec, s[26:27]
	s_cbranch_vccz .LBB20_183
; %bb.182:                              ;   in Loop: Header=BB20_66 Depth=3
	s_mov_b32 s62, s18
	s_branch .LBB20_66
.LBB20_183:                             ;   in Loop: Header=BB20_22 Depth=2
	s_and_b64 s[18:19], s[80:81], s[16:17]
	s_and_saveexec_b64 s[16:17], s[18:19]
	s_cbranch_execz .LBB20_185
; %bb.184:                              ;   in Loop: Header=BB20_22 Depth=2
	ds_read_b32 v27, v1
	v_readlane_b32 s26, v61, 2
	v_readlane_b32 s27, v61, 3
	s_add_i32 s18, s50, 1
	v_mov_b32_e32 v2, s27
	s_waitcnt lgkmcnt(0)
	v_ashrrev_i32_e32 v28, 31, v27
	v_lshlrev_b64 v[28:29], 2, v[27:28]
	v_mov_b32_e32 v30, s18
	v_add_co_u32_e32 v28, vcc, s26, v28
	v_addc_co_u32_e32 v29, vcc, v2, v29, vcc
	v_add_u32_e32 v2, 1, v27
	global_store_dword v[28:29], v30, off
	ds_write_b32 v1, v2
.LBB20_185:                             ;   in Loop: Header=BB20_22 Depth=2
	s_or_b64 exec, exec, s[16:17]
	v_mov_b32_e32 v27, 0
	v_mov_b32_e32 v28, 0
	v_bfrev_b32_e32 v2, -2
	s_and_saveexec_b64 s[26:27], s[8:9]
	s_mov_b32 s63, s15
	s_mov_b32 s64, s93
	v_readlane_b32 s65, v61, 26
	v_readlane_b32 s15, v61, 35
	s_cbranch_execz .LBB20_189
; %bb.186:                              ;   in Loop: Header=BB20_22 Depth=2
	v_mov_b32_e32 v27, 0
	v_mov_b32_e32 v30, v4
	;; [unrolled: 1-line block ×3, first 2 shown]
	v_bfrev_b32_e32 v2, -2
	s_mov_b64 s[38:39], 0
	v_mov_b32_e32 v29, v3
	v_mov_b32_e32 v31, v0
.LBB20_187:                             ;   Parent Loop BB20_12 Depth=1
                                        ;     Parent Loop BB20_22 Depth=2
                                        ; =>    This Inner Loop Header: Depth=3
	global_load_dwordx2 v[32:33], v[29:30], off
	v_add_co_u32_e32 v29, vcc, 0x800, v29
	v_cmp_eq_u32_e64 s[16:17], s55, v2
	v_add_u32_e32 v34, 1, v31
	v_add_u32_e32 v31, 0x100, v31
	v_addc_co_u32_e32 v30, vcc, 0, v30, vcc
	v_cmp_lt_i32_e64 s[18:19], s88, v31
	s_waitcnt vmcnt(0)
	v_cmp_lt_f64_e64 s[52:53], v[27:28], |v[32:33]|
	v_and_b32_e32 v33, 0x7fffffff, v33
	s_or_b64 vcc, s[52:53], s[16:17]
	v_cndmask_b32_e32 v28, v28, v33, vcc
	v_cndmask_b32_e32 v27, v27, v32, vcc
	s_or_b64 s[38:39], s[18:19], s[38:39]
	v_cndmask_b32_e32 v2, v2, v34, vcc
	s_andn2_b64 exec, exec, s[38:39]
	s_cbranch_execnz .LBB20_187
; %bb.188:                              ;   in Loop: Header=BB20_22 Depth=2
	s_or_b64 exec, exec, s[38:39]
.LBB20_189:                             ;   in Loop: Header=BB20_22 Depth=2
	s_or_b64 exec, exec, s[26:27]
	ds_write_b64 v46, v[27:28]
	ds_write_b32 v47, v2 offset:4096
	s_waitcnt vmcnt(0) lgkmcnt(0)
	s_barrier
	s_and_saveexec_b64 s[18:19], s[2:3]
	s_cbranch_execz .LBB20_195
; %bb.190:                              ;   in Loop: Header=BB20_22 Depth=2
	ds_read_b64 v[29:30], v46 offset:1024
	ds_read_b32 v31, v47 offset:4608
	s_waitcnt lgkmcnt(1)
	v_cmp_lt_f64_e64 s[26:27], v[27:28], v[29:30]
	v_cmp_nlt_f64_e32 vcc, v[27:28], v[29:30]
	s_and_saveexec_b64 s[38:39], vcc
	s_cbranch_execz .LBB20_192
; %bb.191:                              ;   in Loop: Header=BB20_22 Depth=2
	v_cmp_eq_f64_e32 vcc, v[27:28], v[29:30]
	s_waitcnt lgkmcnt(0)
	v_cmp_gt_i32_e64 s[16:17], v2, v31
	s_andn2_b64 s[26:27], s[26:27], exec
	s_and_b64 s[16:17], vcc, s[16:17]
	s_and_b64 s[16:17], s[16:17], exec
	s_or_b64 s[26:27], s[26:27], s[16:17]
.LBB20_192:                             ;   in Loop: Header=BB20_22 Depth=2
	s_or_b64 exec, exec, s[38:39]
	s_and_saveexec_b64 s[16:17], s[26:27]
	s_cbranch_execz .LBB20_194
; %bb.193:                              ;   in Loop: Header=BB20_22 Depth=2
	v_mov_b32_e32 v27, v29
	s_waitcnt lgkmcnt(0)
	v_mov_b32_e32 v2, v31
	v_mov_b32_e32 v28, v30
	ds_write_b64 v46, v[29:30]
	ds_write_b32 v47, v31 offset:4096
.LBB20_194:                             ;   in Loop: Header=BB20_22 Depth=2
	s_or_b64 exec, exec, s[16:17]
.LBB20_195:                             ;   in Loop: Header=BB20_22 Depth=2
	s_or_b64 exec, exec, s[18:19]
	s_waitcnt lgkmcnt(0)
	s_barrier
	s_and_saveexec_b64 s[26:27], s[4:5]
	s_cbranch_execz .LBB20_222
; %bb.196:                              ;   in Loop: Header=BB20_22 Depth=2
	ds_read_b64 v[29:30], v46 offset:512
	ds_read_b32 v31, v47 offset:4352
	s_waitcnt lgkmcnt(1)
	v_cmp_lt_f64_e64 s[18:19], v[27:28], v[29:30]
	v_cmp_nlt_f64_e32 vcc, v[27:28], v[29:30]
	s_and_saveexec_b64 s[38:39], vcc
	s_cbranch_execz .LBB20_198
; %bb.197:                              ;   in Loop: Header=BB20_22 Depth=2
	v_cmp_eq_f64_e32 vcc, v[27:28], v[29:30]
	s_waitcnt lgkmcnt(0)
	v_cmp_gt_i32_e64 s[16:17], v2, v31
	s_andn2_b64 s[18:19], s[18:19], exec
	s_and_b64 s[16:17], vcc, s[16:17]
	s_and_b64 s[16:17], s[16:17], exec
	s_or_b64 s[18:19], s[18:19], s[16:17]
.LBB20_198:                             ;   in Loop: Header=BB20_22 Depth=2
	s_or_b64 exec, exec, s[38:39]
	s_and_saveexec_b64 s[16:17], s[18:19]
	s_cbranch_execz .LBB20_200
; %bb.199:                              ;   in Loop: Header=BB20_22 Depth=2
	v_mov_b32_e32 v27, v29
	v_mov_b32_e32 v28, v30
	s_waitcnt lgkmcnt(0)
	v_mov_b32_e32 v2, v31
	ds_write_b64 v46, v[29:30]
	ds_write_b32 v47, v31 offset:4096
.LBB20_200:                             ;   in Loop: Header=BB20_22 Depth=2
	s_or_b64 exec, exec, s[16:17]
	ds_read_b64 v[29:30], v46 offset:256
	s_waitcnt lgkmcnt(1)
	ds_read_b32 v31, v47 offset:4224
	s_waitcnt lgkmcnt(1)
	v_cmp_lt_f64_e64 s[18:19], v[27:28], v[29:30]
	v_cmp_nlt_f64_e32 vcc, v[27:28], v[29:30]
	s_and_saveexec_b64 s[38:39], vcc
	s_cbranch_execz .LBB20_202
; %bb.201:                              ;   in Loop: Header=BB20_22 Depth=2
	v_cmp_eq_f64_e32 vcc, v[27:28], v[29:30]
	s_waitcnt lgkmcnt(0)
	v_cmp_gt_i32_e64 s[16:17], v2, v31
	s_andn2_b64 s[18:19], s[18:19], exec
	s_and_b64 s[16:17], vcc, s[16:17]
	s_and_b64 s[16:17], s[16:17], exec
	s_or_b64 s[18:19], s[18:19], s[16:17]
.LBB20_202:                             ;   in Loop: Header=BB20_22 Depth=2
	s_or_b64 exec, exec, s[38:39]
	s_and_saveexec_b64 s[16:17], s[18:19]
	s_cbranch_execz .LBB20_204
; %bb.203:                              ;   in Loop: Header=BB20_22 Depth=2
	v_mov_b32_e32 v27, v29
	v_mov_b32_e32 v28, v30
	s_waitcnt lgkmcnt(0)
	v_mov_b32_e32 v2, v31
	ds_write_b64 v46, v[29:30]
	ds_write_b32 v47, v31 offset:4096
.LBB20_204:                             ;   in Loop: Header=BB20_22 Depth=2
	s_or_b64 exec, exec, s[16:17]
	ds_read_b64 v[29:30], v46 offset:128
	s_waitcnt lgkmcnt(1)
	ds_read_b32 v31, v47 offset:4160
	s_waitcnt lgkmcnt(1)
	v_cmp_lt_f64_e64 s[18:19], v[27:28], v[29:30]
	v_cmp_nlt_f64_e32 vcc, v[27:28], v[29:30]
	s_and_saveexec_b64 s[38:39], vcc
	s_cbranch_execz .LBB20_206
; %bb.205:                              ;   in Loop: Header=BB20_22 Depth=2
	v_cmp_eq_f64_e32 vcc, v[27:28], v[29:30]
	s_waitcnt lgkmcnt(0)
	v_cmp_gt_i32_e64 s[16:17], v2, v31
	s_andn2_b64 s[18:19], s[18:19], exec
	s_and_b64 s[16:17], vcc, s[16:17]
	s_and_b64 s[16:17], s[16:17], exec
	s_or_b64 s[18:19], s[18:19], s[16:17]
.LBB20_206:                             ;   in Loop: Header=BB20_22 Depth=2
	s_or_b64 exec, exec, s[38:39]
	s_and_saveexec_b64 s[16:17], s[18:19]
	s_cbranch_execz .LBB20_208
; %bb.207:                              ;   in Loop: Header=BB20_22 Depth=2
	v_mov_b32_e32 v27, v29
	v_mov_b32_e32 v28, v30
	s_waitcnt lgkmcnt(0)
	v_mov_b32_e32 v2, v31
	ds_write_b64 v46, v[29:30]
	ds_write_b32 v47, v31 offset:4096
.LBB20_208:                             ;   in Loop: Header=BB20_22 Depth=2
	s_or_b64 exec, exec, s[16:17]
	ds_read_b64 v[29:30], v46 offset:64
	s_waitcnt lgkmcnt(1)
	ds_read_b32 v31, v47 offset:4128
	s_waitcnt lgkmcnt(1)
	v_cmp_lt_f64_e64 s[18:19], v[27:28], v[29:30]
	v_cmp_nlt_f64_e32 vcc, v[27:28], v[29:30]
	s_and_saveexec_b64 s[38:39], vcc
	s_cbranch_execz .LBB20_210
; %bb.209:                              ;   in Loop: Header=BB20_22 Depth=2
	v_cmp_eq_f64_e32 vcc, v[27:28], v[29:30]
	s_waitcnt lgkmcnt(0)
	v_cmp_gt_i32_e64 s[16:17], v2, v31
	s_andn2_b64 s[18:19], s[18:19], exec
	s_and_b64 s[16:17], vcc, s[16:17]
	s_and_b64 s[16:17], s[16:17], exec
	s_or_b64 s[18:19], s[18:19], s[16:17]
.LBB20_210:                             ;   in Loop: Header=BB20_22 Depth=2
	s_or_b64 exec, exec, s[38:39]
	s_and_saveexec_b64 s[16:17], s[18:19]
	s_cbranch_execz .LBB20_212
; %bb.211:                              ;   in Loop: Header=BB20_22 Depth=2
	v_mov_b32_e32 v27, v29
	v_mov_b32_e32 v28, v30
	s_waitcnt lgkmcnt(0)
	v_mov_b32_e32 v2, v31
	ds_write_b64 v46, v[29:30]
	ds_write_b32 v47, v31 offset:4096
.LBB20_212:                             ;   in Loop: Header=BB20_22 Depth=2
	s_or_b64 exec, exec, s[16:17]
	ds_read_b64 v[29:30], v46 offset:32
	s_waitcnt lgkmcnt(1)
	ds_read_b32 v31, v47 offset:4112
	s_waitcnt lgkmcnt(1)
	v_cmp_lt_f64_e64 s[18:19], v[27:28], v[29:30]
	v_cmp_nlt_f64_e32 vcc, v[27:28], v[29:30]
	s_and_saveexec_b64 s[38:39], vcc
	s_cbranch_execz .LBB20_214
; %bb.213:                              ;   in Loop: Header=BB20_22 Depth=2
	v_cmp_eq_f64_e32 vcc, v[27:28], v[29:30]
	s_waitcnt lgkmcnt(0)
	v_cmp_gt_i32_e64 s[16:17], v2, v31
	s_andn2_b64 s[18:19], s[18:19], exec
	s_and_b64 s[16:17], vcc, s[16:17]
	s_and_b64 s[16:17], s[16:17], exec
	s_or_b64 s[18:19], s[18:19], s[16:17]
.LBB20_214:                             ;   in Loop: Header=BB20_22 Depth=2
	s_or_b64 exec, exec, s[38:39]
	s_and_saveexec_b64 s[16:17], s[18:19]
	s_cbranch_execz .LBB20_216
; %bb.215:                              ;   in Loop: Header=BB20_22 Depth=2
	v_mov_b32_e32 v27, v29
	v_mov_b32_e32 v28, v30
	s_waitcnt lgkmcnt(0)
	v_mov_b32_e32 v2, v31
	ds_write_b64 v46, v[29:30]
	ds_write_b32 v47, v31 offset:4096
.LBB20_216:                             ;   in Loop: Header=BB20_22 Depth=2
	s_or_b64 exec, exec, s[16:17]
	ds_read_b64 v[29:30], v46 offset:16
	s_waitcnt lgkmcnt(1)
	ds_read_b32 v31, v47 offset:4104
	s_waitcnt lgkmcnt(1)
	v_cmp_lt_f64_e64 s[18:19], v[27:28], v[29:30]
	v_cmp_nlt_f64_e32 vcc, v[27:28], v[29:30]
	s_and_saveexec_b64 s[38:39], vcc
	s_cbranch_execz .LBB20_218
; %bb.217:                              ;   in Loop: Header=BB20_22 Depth=2
	v_cmp_eq_f64_e32 vcc, v[27:28], v[29:30]
	s_waitcnt lgkmcnt(0)
	v_cmp_gt_i32_e64 s[16:17], v2, v31
	s_andn2_b64 s[18:19], s[18:19], exec
	s_and_b64 s[16:17], vcc, s[16:17]
	s_and_b64 s[16:17], s[16:17], exec
	s_or_b64 s[18:19], s[18:19], s[16:17]
.LBB20_218:                             ;   in Loop: Header=BB20_22 Depth=2
	s_or_b64 exec, exec, s[38:39]
	s_and_saveexec_b64 s[16:17], s[18:19]
	s_cbranch_execz .LBB20_220
; %bb.219:                              ;   in Loop: Header=BB20_22 Depth=2
	v_mov_b32_e32 v27, v29
	v_mov_b32_e32 v28, v30
	s_waitcnt lgkmcnt(0)
	v_mov_b32_e32 v2, v31
	ds_write_b64 v46, v[29:30]
	ds_write_b32 v47, v31 offset:4096
.LBB20_220:                             ;   in Loop: Header=BB20_22 Depth=2
	s_or_b64 exec, exec, s[16:17]
	ds_read_b64 v[29:30], v46 offset:8
	s_waitcnt lgkmcnt(0)
	v_cmp_eq_f64_e32 vcc, v[27:28], v[29:30]
	v_cmp_lt_f64_e64 s[16:17], v[27:28], v[29:30]
	ds_read_b32 v27, v47 offset:4100
	s_waitcnt lgkmcnt(0)
	v_cmp_gt_i32_e64 s[18:19], v2, v27
	s_and_b64 s[18:19], vcc, s[18:19]
	s_or_b64 s[16:17], s[16:17], s[18:19]
	s_and_b64 exec, exec, s[16:17]
	s_cbranch_execz .LBB20_222
; %bb.221:                              ;   in Loop: Header=BB20_22 Depth=2
	ds_write_b64 v46, v[29:30]
	ds_write_b32 v47, v27 offset:4096
.LBB20_222:                             ;   in Loop: Header=BB20_22 Depth=2
	s_or_b64 exec, exec, s[26:27]
	v_mov_b32_e32 v27, 0
	v_readlane_b32 s6, v61, 33
	v_mov_b32_e32 v28, 0
	v_readlane_b32 s7, v61, 34
	s_and_saveexec_b64 s[18:19], s[6:7]
	s_cbranch_execz .LBB20_226
; %bb.223:                              ;   in Loop: Header=BB20_22 Depth=2
	v_mov_b32_e32 v27, 0
	v_mov_b32_e32 v30, v4
	;; [unrolled: 1-line block ×3, first 2 shown]
	s_mov_b64 s[26:27], 0
	v_mov_b32_e32 v29, v3
	v_mov_b32_e32 v2, v0
.LBB20_224:                             ;   Parent Loop BB20_12 Depth=1
                                        ;     Parent Loop BB20_22 Depth=2
                                        ; =>    This Inner Loop Header: Depth=3
	global_load_dwordx2 v[31:32], v[29:30], off
	v_add_u32_e32 v2, 0x100, v2
	v_add_co_u32_e32 v29, vcc, 0x800, v29
	v_cmp_ge_u32_e64 s[16:17], v2, v52
	s_or_b64 s[26:27], s[16:17], s[26:27]
	v_addc_co_u32_e32 v30, vcc, 0, v30, vcc
	s_waitcnt vmcnt(0)
	v_fma_f64 v[27:28], v[31:32], v[31:32], v[27:28]
	s_andn2_b64 exec, exec, s[26:27]
	s_cbranch_execnz .LBB20_224
; %bb.225:                              ;   in Loop: Header=BB20_22 Depth=2
	s_or_b64 exec, exec, s[26:27]
.LBB20_226:                             ;   in Loop: Header=BB20_22 Depth=2
	s_or_b64 exec, exec, s[18:19]
	v_add_u32_e32 v2, v47, v45
	ds_write_b64 v2, v[27:28] offset:2048
	s_waitcnt lgkmcnt(0)
	s_barrier
	s_and_saveexec_b64 s[16:17], s[2:3]
	s_cbranch_execz .LBB20_228
; %bb.227:                              ;   in Loop: Header=BB20_22 Depth=2
	ds_read_b64 v[29:30], v2 offset:3072
	s_waitcnt lgkmcnt(0)
	v_add_f64 v[27:28], v[27:28], v[29:30]
.LBB20_228:                             ;   in Loop: Header=BB20_22 Depth=2
	s_or_b64 exec, exec, s[16:17]
	s_barrier
	s_and_saveexec_b64 s[16:17], s[2:3]
; %bb.229:                              ;   in Loop: Header=BB20_22 Depth=2
	ds_write_b64 v2, v[27:28] offset:2048
; %bb.230:                              ;   in Loop: Header=BB20_22 Depth=2
	s_or_b64 exec, exec, s[16:17]
	s_waitcnt lgkmcnt(0)
	s_barrier
	s_and_saveexec_b64 s[16:17], s[4:5]
	s_cbranch_execz .LBB20_232
; %bb.231:                              ;   in Loop: Header=BB20_22 Depth=2
	ds_read2st64_b64 v[27:30], v2 offset0:4 offset1:5
	v_add_u32_e32 v31, 0x800, v2
	s_waitcnt lgkmcnt(0)
	v_add_f64 v[27:28], v[27:28], v[29:30]
	ds_write_b64 v2, v[27:28] offset:2048
	s_waitcnt lgkmcnt(0)
	buffer_wbinvl1_vol
	ds_read2_b64 v[27:30], v31 offset1:32
	s_waitcnt lgkmcnt(0)
	v_add_f64 v[27:28], v[27:28], v[29:30]
	ds_write_b64 v2, v[27:28] offset:2048
	s_waitcnt lgkmcnt(0)
	buffer_wbinvl1_vol
	ds_read2_b64 v[27:30], v31 offset1:16
	;; [unrolled: 6-line block ×6, first 2 shown]
	s_waitcnt lgkmcnt(0)
	v_add_f64 v[27:28], v[27:28], v[29:30]
	ds_write_b64 v2, v[27:28] offset:2048
	s_waitcnt lgkmcnt(0)
	buffer_wbinvl1_vol
.LBB20_232:                             ;   in Loop: Header=BB20_22 Depth=2
	s_or_b64 exec, exec, s[16:17]
	s_and_saveexec_b64 s[16:17], s[0:1]
	s_cbranch_execz .LBB20_234
; %bb.233:                              ;   in Loop: Header=BB20_22 Depth=2
	ds_read_b64 v[27:28], v51 offset:2048
	s_mov_b32 s6, 0
	s_brev_b32 s7, 8
	s_waitcnt lgkmcnt(0)
	v_cmp_gt_f64_e32 vcc, s[6:7], v[27:28]
	s_and_b64 s[18:19], vcc, exec
	s_cselect_b32 s18, 0x100, 0
	v_ldexp_f64 v[27:28], v[27:28], s18
	s_cselect_b32 s18, 0xffffff80, 0
	v_rsq_f64_e32 v[29:30], v[27:28]
	v_cmp_class_f64_e32 vcc, v[27:28], v48
	v_mul_f64 v[31:32], v[27:28], v[29:30]
	v_mul_f64 v[29:30], v[29:30], 0.5
	v_fma_f64 v[33:34], -v[29:30], v[31:32], 0.5
	v_fma_f64 v[31:32], v[31:32], v[33:34], v[31:32]
	v_fma_f64 v[29:30], v[29:30], v[33:34], v[29:30]
	v_fma_f64 v[33:34], -v[31:32], v[31:32], v[27:28]
	v_fma_f64 v[31:32], v[33:34], v[29:30], v[31:32]
	v_fma_f64 v[33:34], -v[31:32], v[31:32], v[27:28]
	v_fma_f64 v[29:30], v[33:34], v[29:30], v[31:32]
	v_ldexp_f64 v[29:30], v[29:30], s18
	v_cndmask_b32_e32 v28, v30, v28, vcc
	v_cndmask_b32_e32 v27, v29, v27, vcc
	ds_write_b64 v51, v[27:28] offset:2048
.LBB20_234:                             ;   in Loop: Header=BB20_22 Depth=2
	s_or_b64 exec, exec, s[16:17]
	s_waitcnt lgkmcnt(0)
	s_barrier
	ds_read_b32 v29, v51 offset:4096
	ds_read_b64 v[27:28], v51 offset:2048
	v_mov_b32_e32 v2, s37
	s_waitcnt lgkmcnt(1)
	v_ashrrev_i32_e32 v30, 31, v29
	v_lshlrev_b64 v[29:30], 3, v[29:30]
	v_add_co_u32_e32 v29, vcc, s36, v29
	v_addc_co_u32_e32 v30, vcc, v2, v30, vcc
	global_load_dwordx2 v[29:30], v[29:30], off offset:-8
	s_waitcnt vmcnt(0) lgkmcnt(0)
	s_barrier
	s_and_saveexec_b64 s[16:17], s[8:9]
	s_cbranch_execz .LBB20_237
; %bb.235:                              ;   in Loop: Header=BB20_22 Depth=2
	v_cmp_nle_f64_e32 vcc, 0, v[29:30]
	s_mov_b32 s19, 0xbff00000
	s_mov_b32 s18, s21
	v_mov_b32_e32 v2, v0
	s_and_b64 s[26:27], vcc, exec
	s_cselect_b32 s19, s19, 0x3ff00000
	v_div_scale_f64 v[29:30], s[26:27], v[27:28], v[27:28], s[18:19]
	v_div_scale_f64 v[35:36], vcc, s[18:19], v[27:28], s[18:19]
	v_rcp_f64_e32 v[31:32], v[29:30]
	v_fma_f64 v[33:34], -v[29:30], v[31:32], 1.0
	v_fma_f64 v[31:32], v[31:32], v[33:34], v[31:32]
	v_fma_f64 v[33:34], -v[29:30], v[31:32], 1.0
	v_fma_f64 v[31:32], v[31:32], v[33:34], v[31:32]
	v_mul_f64 v[33:34], v[35:36], v[31:32]
	v_fma_f64 v[29:30], -v[29:30], v[33:34], v[35:36]
	v_div_fmas_f64 v[29:30], v[29:30], v[31:32], v[33:34]
	v_div_fixup_f64 v[27:28], v[29:30], v[27:28], s[18:19]
	v_mov_b32_e32 v30, v4
	s_mov_b64 s[18:19], 0
	v_mov_b32_e32 v29, v3
.LBB20_236:                             ;   Parent Loop BB20_12 Depth=1
                                        ;     Parent Loop BB20_22 Depth=2
                                        ; =>    This Inner Loop Header: Depth=3
	global_load_dwordx2 v[31:32], v[29:30], off
	v_add_u32_e32 v2, 0x100, v2
	v_cmp_lt_i32_e32 vcc, s88, v2
	s_or_b64 s[18:19], vcc, s[18:19]
	s_waitcnt vmcnt(0)
	v_mul_f64 v[31:32], v[27:28], v[31:32]
	global_store_dwordx2 v[29:30], v[31:32], off
	v_add_co_u32_e32 v29, vcc, 0x800, v29
	v_addc_co_u32_e32 v30, vcc, 0, v30, vcc
	s_andn2_b64 exec, exec, s[18:19]
	s_cbranch_execnz .LBB20_236
.LBB20_237:                             ;   in Loop: Header=BB20_22 Depth=2
	s_or_b64 exec, exec, s[16:17]
	s_waitcnt vmcnt(0)
	s_barrier
.LBB20_238:                             ;   in Loop: Header=BB20_22 Depth=2
	s_waitcnt vmcnt(0)
	v_mov_b32_e32 v28, v26
	v_mov_b32_e32 v27, v25
	s_and_saveexec_b64 s[18:19], s[90:91]
	s_cbranch_execz .LBB20_243
; %bb.239:                              ;   in Loop: Header=BB20_22 Depth=2
	s_mov_b64 s[26:27], 0
	v_mov_b32_e32 v2, v0
	s_branch .LBB20_241
.LBB20_240:                             ;   in Loop: Header=BB20_241 Depth=3
	s_or_b64 exec, exec, s[16:17]
	v_add_u32_e32 v29, s11, v2
	v_ashrrev_i32_e32 v30, 31, v29
	v_lshlrev_b64 v[29:30], 3, v[29:30]
	v_mov_b32_e32 v31, s72
	v_add_co_u32_e32 v29, vcc, s56, v29
	v_addc_co_u32_e32 v30, vcc, v31, v30, vcc
	v_add_u32_e32 v2, 0x100, v2
	v_cmp_le_i32_e32 vcc, s54, v2
	s_or_b64 s[26:27], vcc, s[26:27]
	s_waitcnt vmcnt(0)
	global_store_dwordx2 v[29:30], v[25:26], off
	s_andn2_b64 exec, exec, s[26:27]
	s_cbranch_execz .LBB20_243
.LBB20_241:                             ;   Parent Loop BB20_12 Depth=1
                                        ;     Parent Loop BB20_22 Depth=2
                                        ; =>    This Inner Loop Header: Depth=3
	v_cmp_le_i32_e32 vcc, s84, v2
	v_cmp_gt_i32_e64 s[16:17], s86, v2
	v_mov_b32_e32 v25, 0
	v_mov_b32_e32 v26, 0
	s_and_b64 s[38:39], vcc, s[16:17]
	s_and_saveexec_b64 s[16:17], s[38:39]
	s_cbranch_execz .LBB20_240
; %bb.242:                              ;   in Loop: Header=BB20_241 Depth=3
	v_add_u32_e32 v25, s89, v2
	v_mov_b32_e32 v26, v1
	v_lshlrev_b64 v[25:26], 3, v[25:26]
	v_mov_b32_e32 v29, s37
	v_add_co_u32_e32 v25, vcc, s36, v25
	v_addc_co_u32_e32 v26, vcc, v29, v26, vcc
	global_load_dwordx2 v[25:26], v[25:26], off
	s_branch .LBB20_240
.LBB20_243:                             ;   in Loop: Header=BB20_22 Depth=2
	s_or_b64 exec, exec, s[18:19]
	s_add_i32 s10, s10, 1
	s_add_i32 s50, s50, 1
	;; [unrolled: 1-line block ×3, first 2 shown]
	s_cmp_ge_i32 s50, s92
	s_waitcnt vmcnt(0)
	s_barrier
	s_cselect_b64 s[16:17], -1, 0
	s_mov_b32 s18, s15
	s_and_b64 vcc, exec, s[16:17]
	s_cbranch_vccz .LBB20_22
	s_branch .LBB20_10
.LBB20_244:
	s_and_saveexec_b64 s[2:3], s[0:1]
	s_cbranch_execz .LBB20_246
; %bb.245:
	v_mov_b32_e32 v0, 0
	ds_read_b32 v1, v0
	v_readlane_b32 s0, v61, 0
	v_readlane_b32 s1, v61, 1
	s_add_u32 s0, s22, s0
	s_addc_u32 s1, s23, s1
	s_waitcnt lgkmcnt(0)
	s_nop 1
	global_store_dword v0, v1, s[0:1]
.LBB20_246:
	s_endpgm
	.section	.rodata,"a",@progbits
	.p2align	6, 0x0
	.amdhsa_kernel _ZN9rocsolver6v33100L12stein_kernelIddPdEEviPT0_lS4_lPiS4_lS5_lS5_lT1_iilS5_lS5_S4_S5_S3_S3_
		.amdhsa_group_segment_fixed_size 8
		.amdhsa_private_segment_fixed_size 0
		.amdhsa_kernarg_size 176
		.amdhsa_user_sgpr_count 6
		.amdhsa_user_sgpr_private_segment_buffer 1
		.amdhsa_user_sgpr_dispatch_ptr 0
		.amdhsa_user_sgpr_queue_ptr 0
		.amdhsa_user_sgpr_kernarg_segment_ptr 1
		.amdhsa_user_sgpr_dispatch_id 0
		.amdhsa_user_sgpr_flat_scratch_init 0
		.amdhsa_user_sgpr_private_segment_size 0
		.amdhsa_uses_dynamic_stack 0
		.amdhsa_system_sgpr_private_segment_wavefront_offset 0
		.amdhsa_system_sgpr_workgroup_id_x 1
		.amdhsa_system_sgpr_workgroup_id_y 1
		.amdhsa_system_sgpr_workgroup_id_z 0
		.amdhsa_system_sgpr_workgroup_info 0
		.amdhsa_system_vgpr_workitem_id 0
		.amdhsa_next_free_vgpr 62
		.amdhsa_next_free_sgpr 96
		.amdhsa_reserve_vcc 1
		.amdhsa_reserve_flat_scratch 0
		.amdhsa_float_round_mode_32 0
		.amdhsa_float_round_mode_16_64 0
		.amdhsa_float_denorm_mode_32 3
		.amdhsa_float_denorm_mode_16_64 3
		.amdhsa_dx10_clamp 1
		.amdhsa_ieee_mode 1
		.amdhsa_fp16_overflow 0
		.amdhsa_exception_fp_ieee_invalid_op 0
		.amdhsa_exception_fp_denorm_src 0
		.amdhsa_exception_fp_ieee_div_zero 0
		.amdhsa_exception_fp_ieee_overflow 0
		.amdhsa_exception_fp_ieee_underflow 0
		.amdhsa_exception_fp_ieee_inexact 0
		.amdhsa_exception_int_div_zero 0
	.end_amdhsa_kernel
	.section	.text._ZN9rocsolver6v33100L12stein_kernelIddPdEEviPT0_lS4_lPiS4_lS5_lS5_lT1_iilS5_lS5_S4_S5_S3_S3_,"axG",@progbits,_ZN9rocsolver6v33100L12stein_kernelIddPdEEviPT0_lS4_lPiS4_lS5_lS5_lT1_iilS5_lS5_S4_S5_S3_S3_,comdat
.Lfunc_end20:
	.size	_ZN9rocsolver6v33100L12stein_kernelIddPdEEviPT0_lS4_lPiS4_lS5_lS5_lT1_iilS5_lS5_S4_S5_S3_S3_, .Lfunc_end20-_ZN9rocsolver6v33100L12stein_kernelIddPdEEviPT0_lS4_lPiS4_lS5_lS5_lT1_iilS5_lS5_S4_S5_S3_S3_
                                        ; -- End function
	.set _ZN9rocsolver6v33100L12stein_kernelIddPdEEviPT0_lS4_lPiS4_lS5_lS5_lT1_iilS5_lS5_S4_S5_S3_S3_.num_vgpr, 62
	.set _ZN9rocsolver6v33100L12stein_kernelIddPdEEviPT0_lS4_lPiS4_lS5_lS5_lT1_iilS5_lS5_S4_S5_S3_S3_.num_agpr, 0
	.set _ZN9rocsolver6v33100L12stein_kernelIddPdEEviPT0_lS4_lPiS4_lS5_lS5_lT1_iilS5_lS5_S4_S5_S3_S3_.numbered_sgpr, 96
	.set _ZN9rocsolver6v33100L12stein_kernelIddPdEEviPT0_lS4_lPiS4_lS5_lS5_lT1_iilS5_lS5_S4_S5_S3_S3_.num_named_barrier, 0
	.set _ZN9rocsolver6v33100L12stein_kernelIddPdEEviPT0_lS4_lPiS4_lS5_lS5_lT1_iilS5_lS5_S4_S5_S3_S3_.private_seg_size, 0
	.set _ZN9rocsolver6v33100L12stein_kernelIddPdEEviPT0_lS4_lPiS4_lS5_lS5_lT1_iilS5_lS5_S4_S5_S3_S3_.uses_vcc, 1
	.set _ZN9rocsolver6v33100L12stein_kernelIddPdEEviPT0_lS4_lPiS4_lS5_lS5_lT1_iilS5_lS5_S4_S5_S3_S3_.uses_flat_scratch, 0
	.set _ZN9rocsolver6v33100L12stein_kernelIddPdEEviPT0_lS4_lPiS4_lS5_lS5_lT1_iilS5_lS5_S4_S5_S3_S3_.has_dyn_sized_stack, 0
	.set _ZN9rocsolver6v33100L12stein_kernelIddPdEEviPT0_lS4_lPiS4_lS5_lS5_lT1_iilS5_lS5_S4_S5_S3_S3_.has_recursion, 0
	.set _ZN9rocsolver6v33100L12stein_kernelIddPdEEviPT0_lS4_lPiS4_lS5_lS5_lT1_iilS5_lS5_S4_S5_S3_S3_.has_indirect_call, 0
	.section	.AMDGPU.csdata,"",@progbits
; Kernel info:
; codeLenInByte = 10832
; TotalNumSgprs: 100
; NumVgprs: 62
; ScratchSize: 0
; MemoryBound: 1
; FloatMode: 240
; IeeeMode: 1
; LDSByteSize: 8 bytes/workgroup (compile time only)
; SGPRBlocks: 12
; VGPRBlocks: 15
; NumSGPRsForWavesPerEU: 100
; NumVGPRsForWavesPerEU: 62
; Occupancy: 4
; WaveLimiterHint : 1
; COMPUTE_PGM_RSRC2:SCRATCH_EN: 0
; COMPUTE_PGM_RSRC2:USER_SGPR: 6
; COMPUTE_PGM_RSRC2:TRAP_HANDLER: 0
; COMPUTE_PGM_RSRC2:TGID_X_EN: 1
; COMPUTE_PGM_RSRC2:TGID_Y_EN: 1
; COMPUTE_PGM_RSRC2:TGID_Z_EN: 0
; COMPUTE_PGM_RSRC2:TIDIG_COMP_CNT: 0
	.section	.text._ZN9rocsolver6v33100L15syevx_sort_eigsIddPdEEviPiPT0_lT1_iilS3_lS3_S3_,"axG",@progbits,_ZN9rocsolver6v33100L15syevx_sort_eigsIddPdEEviPiPT0_lT1_iilS3_lS3_S3_,comdat
	.globl	_ZN9rocsolver6v33100L15syevx_sort_eigsIddPdEEviPiPT0_lT1_iilS3_lS3_S3_ ; -- Begin function _ZN9rocsolver6v33100L15syevx_sort_eigsIddPdEEviPiPT0_lT1_iilS3_lS3_S3_
	.p2align	8
	.type	_ZN9rocsolver6v33100L15syevx_sort_eigsIddPdEEviPiPT0_lT1_iilS3_lS3_S3_,@function
_ZN9rocsolver6v33100L15syevx_sort_eigsIddPdEEviPiPT0_lT1_iilS3_lS3_S3_: ; @_ZN9rocsolver6v33100L15syevx_sort_eigsIddPdEEviPiPT0_lT1_iilS3_lS3_S3_
; %bb.0:
	s_add_u32 flat_scratch_lo, s6, s10
	s_addc_u32 flat_scratch_hi, s7, 0
	s_mov_b64 s[26:27], s[4:5]
	s_load_dwordx8 s[36:43], s[4:5], 0x8
	s_load_dwordx8 s[44:51], s[4:5], 0x30
	s_nop 0
	s_load_dwordx2 s[4:5], s[4:5], 0x50
	s_add_u32 s0, s0, s10
	s_mov_b32 s52, s9
	s_mov_b32 s53, 0
	s_addc_u32 s1, s1, 0
	s_lshl_b64 s[6:7], s[52:53], 2
	s_waitcnt lgkmcnt(0)
	s_add_u32 s8, s36, s6
	s_addc_u32 s9, s37, s7
	s_load_dword s53, s[8:9], 0x0
	s_add_u32 s6, s50, s6
	s_addc_u32 s7, s51, s7
	s_mov_b64 s[34:35], 0
	s_cmp_eq_u64 s[46:47], 0
	s_mov_b64 s[28:29], 0
	s_mov_b32 s32, 0
	s_cbranch_scc1 .LBB21_2
; %bb.1:
	s_mul_i32 s8, s49, s52
	s_mul_hi_u32 s9, s48, s52
	s_add_i32 s9, s9, s8
	s_mul_i32 s8, s48, s52
	s_lshl_b64 s[8:9], s[8:9], 2
	s_add_u32 s28, s46, s8
	s_addc_u32 s29, s47, s9
.LBB21_2:
	s_load_dword s49, s[26:27], 0x0
	s_mov_b64 s[8:9], -1
	s_waitcnt lgkmcnt(0)
	s_cmp_le_i32 s53, s49
	s_cbranch_scc1 .LBB21_6
; %bb.3:
	s_and_b64 vcc, exec, s[8:9]
	s_cbranch_vccnz .LBB21_80
.LBB21_4:
	s_and_saveexec_b64 s[4:5], s[34:35]
	s_cbranch_execnz .LBB21_81
.LBB21_5:
	s_endpgm
.LBB21_6:
	s_cmp_lg_u64 s[4:5], 0
	s_mov_b64 s[46:47], 0
	s_cbranch_scc0 .LBB21_28
; %bb.7:
	s_load_dwordx2 s[8:9], s[26:27], 0x64
	s_load_dword s51, s[6:7], 0x0
	s_mul_i32 s6, s49, s52
	s_mov_b32 s7, 0
	s_lshl_b64 s[6:7], s[6:7], 2
	s_waitcnt lgkmcnt(0)
	s_and_b32 s9, s9, 0xffff
	s_lshr_b32 s10, s8, 16
	s_and_b32 s11, s8, 0xffff
	s_and_b32 s12, s9, 0xffff
	s_add_u32 s48, s4, s6
	s_addc_u32 s50, s5, s7
	s_cmp_gt_i32 s53, 0
	s_mul_i32 s54, s10, s11
	s_cselect_b64 s[6:7], -1, 0
	s_cmp_lg_u64 s[38:39], 0
	v_mul_lo_u32 v43, s54, v2
	s_cselect_b64 s[8:9], -1, 0
	s_and_b64 s[6:7], s[8:9], s[6:7]
	s_and_b64 vcc, exec, s[6:7]
	v_mul_u32_u24_e32 v42, s11, v1
	s_mul_i32 s54, s54, s12
	s_barrier
	s_cbranch_vccz .LBB21_29
; %bb.8:
	v_add3_u32 v41, v42, v0, v43
	s_cmp_lg_u64 s[4:5], 0
	s_cselect_b64 s[4:5], -1, 0
	v_cmp_gt_u32_e32 vcc, s53, v41
	s_mov_b64 s[6:7], 0
	s_and_b64 s[10:11], s[4:5], vcc
	s_barrier
	s_and_saveexec_b64 s[8:9], s[10:11]
	s_cbranch_execz .LBB21_11
; %bb.9:
	v_mov_b32_e32 v4, 0
	v_mov_b32_e32 v5, s50
	;; [unrolled: 1-line block ×3, first 2 shown]
.LBB21_10:                              ; =>This Inner Loop Header: Depth=1
	v_lshlrev_b64 v[6:7], 2, v[3:4]
	v_add_co_u32_e32 v6, vcc, s48, v6
	v_addc_co_u32_e32 v7, vcc, v5, v7, vcc
	global_store_dword v[6:7], v3, off
	v_add_u32_e32 v3, s54, v3
	v_cmp_le_u32_e32 vcc, s53, v3
	s_or_b64 s[6:7], vcc, s[6:7]
	s_andn2_b64 exec, exec, s[6:7]
	s_cbranch_execnz .LBB21_10
.LBB21_11:
	s_or_b64 exec, exec, s[8:9]
	s_mul_i32 s6, s41, s52
	s_mul_hi_u32 s8, s40, s52
	s_add_i32 s9, s8, s6
	s_mul_i32 s8, s40, s52
	s_lshl_b64 s[8:9], s[8:9], 3
	v_or3_b32 v1, v1, v2, v0
	s_add_u32 s18, s38, s8
	s_mov_b32 s7, 0
	v_cmp_eq_u32_e32 vcc, 0, v1
	s_addc_u32 s19, s39, s9
	s_waitcnt vmcnt(0)
	s_barrier
	s_and_saveexec_b64 s[8:9], vcc
	s_cbranch_execz .LBB21_30
; %bb.12:
	v_cndmask_b32_e64 v1, 0, 1, s[4:5]
	v_mov_b32_e32 v5, 0
	v_cmp_ne_u32_e64 s[4:5], 1, v1
	s_mov_b32 s10, s7
	s_branch .LBB21_14
.LBB21_13:                              ;   in Loop: Header=BB21_14 Depth=1
	s_add_i32 s10, s10, 1
	s_cmp_eq_u32 s10, 8
	s_cbranch_scc1 .LBB21_30
.LBB21_14:                              ; =>This Loop Header: Depth=1
                                        ;     Child Loop BB21_17 Depth 2
                                        ;       Child Loop BB21_21 Depth 3
	s_mov_b32 s11, s7
	s_lshl_b64 s[12:13], s[10:11], 2
	s_getpc_b64 s[14:15]
	s_add_u32 s14, s14, __const._ZN9rocsolver6v33100L20shell_sort_ascendingIdiEEvT0_PT_PS2_.gaps@rel32@lo+4
	s_addc_u32 s15, s15, __const._ZN9rocsolver6v33100L20shell_sort_ascendingIdiEEvT0_PT_PS2_.gaps@rel32@hi+12
	s_add_u32 s12, s14, s12
	s_addc_u32 s13, s15, s13
	s_load_dword s11, s[12:13], 0x0
	s_waitcnt lgkmcnt(0)
	s_cmp_ge_i32 s11, s53
	s_cbranch_scc1 .LBB21_13
; %bb.15:                               ;   in Loop: Header=BB21_14 Depth=1
	s_mov_b32 s20, 0
	s_mov_b32 s12, s11
	s_branch .LBB21_17
.LBB21_16:                              ;   in Loop: Header=BB21_17 Depth=2
	s_add_i32 s12, s12, 1
	s_add_i32 s20, s20, 1
	s_cmp_ge_i32 s12, s53
	s_cbranch_scc1 .LBB21_13
.LBB21_17:                              ;   Parent Loop BB21_14 Depth=1
                                        ; =>  This Loop Header: Depth=2
                                        ;       Child Loop BB21_21 Depth 3
	s_ashr_i32 s13, s12, 31
	s_lshl_b64 s[14:15], s[12:13], 3
	s_add_u32 s14, s18, s14
	s_addc_u32 s15, s19, s15
	global_load_dwordx2 v[1:2], v5, s[14:15]
	s_and_b64 vcc, exec, s[4:5]
	s_cbranch_vccnz .LBB21_19
; %bb.18:                               ;   in Loop: Header=BB21_17 Depth=2
	s_lshl_b64 s[14:15], s[12:13], 2
	s_add_u32 s14, s48, s14
	s_addc_u32 s15, s50, s15
	global_load_dword v6, v5, s[14:15]
	s_cmp_lt_i32 s12, s11
	s_mov_b64 s[14:15], s[12:13]
	s_mov_b32 s6, s20
	s_cbranch_scc0 .LBB21_21
	s_branch .LBB21_26
.LBB21_19:                              ;   in Loop: Header=BB21_17 Depth=2
	v_mov_b32_e32 v6, 0
	s_cmp_lt_i32 s12, s11
	s_mov_b64 s[14:15], s[12:13]
	s_mov_b32 s6, s20
	s_cbranch_scc0 .LBB21_21
	s_branch .LBB21_26
.LBB21_20:                              ;   in Loop: Header=BB21_21 Depth=3
                                        ; implicit-def: $sgpr13
	s_and_b64 vcc, exec, s[16:17]
	s_mov_b32 s6, s13
	s_cbranch_vccnz .LBB21_25
.LBB21_21:                              ;   Parent Loop BB21_14 Depth=1
                                        ;     Parent Loop BB21_17 Depth=2
                                        ; =>    This Inner Loop Header: Depth=3
	s_add_i32 s14, s11, s6
	s_lshl_b64 s[16:17], s[6:7], 3
	s_add_u32 s16, s18, s16
	s_addc_u32 s17, s19, s17
	global_load_dwordx2 v[3:4], v5, s[16:17]
	s_mov_b64 s[16:17], -1
	s_waitcnt vmcnt(0)
	v_cmp_ngt_f64_e32 vcc, v[3:4], v[1:2]
	s_cbranch_vccnz .LBB21_20
; %bb.22:                               ;   in Loop: Header=BB21_21 Depth=3
	s_ashr_i32 s15, s14, 31
	s_lshl_b64 s[16:17], s[14:15], 3
	s_add_u32 s16, s18, s16
	s_addc_u32 s17, s19, s17
	s_and_b64 vcc, exec, s[4:5]
	global_store_dwordx2 v5, v[3:4], s[16:17]
	s_cbranch_vccnz .LBB21_24
; %bb.23:                               ;   in Loop: Header=BB21_21 Depth=3
	s_lshl_b64 s[14:15], s[14:15], 2
	s_add_u32 s14, s48, s14
	s_addc_u32 s15, s50, s15
	s_lshl_b64 s[16:17], s[6:7], 2
	s_add_u32 s16, s48, s16
	s_addc_u32 s17, s50, s17
	global_load_dword v3, v5, s[16:17]
	s_waitcnt vmcnt(0)
	global_store_dword v5, v3, s[14:15]
.LBB21_24:                              ;   in Loop: Header=BB21_21 Depth=3
	s_sub_i32 s13, s6, s11
	s_cmp_lt_i32 s6, s11
	s_cselect_b64 s[16:17], -1, 0
	s_mov_b32 s14, s6
	s_and_b64 vcc, exec, s[16:17]
	s_mov_b32 s6, s13
	s_cbranch_vccz .LBB21_21
.LBB21_25:                              ;   in Loop: Header=BB21_17 Depth=2
	s_ashr_i32 s15, s14, 31
.LBB21_26:                              ;   in Loop: Header=BB21_17 Depth=2
	s_lshl_b64 s[16:17], s[14:15], 3
	s_add_u32 s16, s18, s16
	s_addc_u32 s17, s19, s17
	s_and_b64 vcc, exec, s[4:5]
	s_waitcnt vmcnt(0)
	global_store_dwordx2 v5, v[1:2], s[16:17]
	s_cbranch_vccnz .LBB21_16
; %bb.27:                               ;   in Loop: Header=BB21_17 Depth=2
	s_lshl_b64 s[14:15], s[14:15], 2
	s_add_u32 s14, s48, s14
	s_addc_u32 s15, s50, s15
	global_store_dword v5, v6, s[14:15]
	s_branch .LBB21_16
.LBB21_28:
	s_cbranch_execnz .LBB21_78
	s_branch .LBB21_79
.LBB21_29:
                                        ; implicit-def: $vgpr41
                                        ; implicit-def: $vgpr3
	s_cbranch_execnz .LBB21_45
	s_branch .LBB21_46
.LBB21_30:
	s_or_b64 exec, exec, s[8:9]
	s_cmp_lt_u32 s53, 2
	s_cselect_b64 s[8:9], -1, 0
	s_mov_b64 s[46:47], 0
	s_and_b64 vcc, exec, s[8:9]
	s_waitcnt vmcnt(0)
	s_barrier
	s_cbranch_vccnz .LBB21_38
; %bb.31:
	s_add_i32 s20, s53, -1
	v_cmp_gt_u32_e32 vcc, s20, v41
	s_mov_b64 s[8:9], -1
	s_mov_b64 s[4:5], 0
	s_and_saveexec_b64 s[6:7], vcc
	s_cbranch_execz .LBB21_40
; %bb.32:
	s_mov_b64 s[8:9], 0
	v_mov_b32_e32 v2, 0
	v_mov_b32_e32 v7, s19
	;; [unrolled: 1-line block ×3, first 2 shown]
                                        ; implicit-def: $sgpr10_sgpr11
	s_branch .LBB21_34
.LBB21_33:                              ;   in Loop: Header=BB21_34 Depth=1
	s_or_b64 exec, exec, s[16:17]
	s_xor_b64 s[12:13], s[14:15], -1
	s_and_b64 s[4:5], exec, s[4:5]
	s_or_b64 s[8:9], s[4:5], s[8:9]
	s_andn2_b64 s[4:5], s[10:11], exec
	s_and_b64 s[10:11], s[12:13], exec
	s_or_b64 s[10:11], s[4:5], s[10:11]
	s_andn2_b64 exec, exec, s[8:9]
	s_cbranch_execz .LBB21_39
.LBB21_34:                              ; =>This Inner Loop Header: Depth=1
	v_lshlrev_b64 v[3:4], 3, v[1:2]
	v_add_co_u32_e32 v3, vcc, s18, v3
	v_addc_co_u32_e32 v4, vcc, v7, v4, vcc
	global_load_dwordx2 v[5:6], v[3:4], off
	s_waitcnt vmcnt(0)
	v_cmp_u_f64_e64 s[12:13], v[5:6], v[5:6]
	v_cmp_o_f64_e32 vcc, v[5:6], v[5:6]
	s_and_saveexec_b64 s[14:15], vcc
	s_cbranch_execz .LBB21_36
; %bb.35:                               ;   in Loop: Header=BB21_34 Depth=1
	global_load_dwordx2 v[3:4], v[3:4], off offset:8
	s_andn2_b64 s[12:13], s[12:13], exec
	s_waitcnt vmcnt(0)
	v_cmp_u_f64_e32 vcc, v[3:4], v[3:4]
	v_cmp_le_f64_e64 s[4:5], v[5:6], v[3:4]
	s_or_b64 s[4:5], vcc, s[4:5]
	s_and_b64 s[4:5], s[4:5], exec
	s_or_b64 s[12:13], s[12:13], s[4:5]
.LBB21_36:                              ;   in Loop: Header=BB21_34 Depth=1
	s_or_b64 exec, exec, s[14:15]
	s_mov_b64 s[4:5], -1
	s_mov_b64 s[14:15], -1
	s_and_saveexec_b64 s[16:17], s[12:13]
	s_cbranch_execz .LBB21_33
; %bb.37:                               ;   in Loop: Header=BB21_34 Depth=1
	v_add_u32_e32 v1, s54, v1
	v_cmp_le_u32_e32 vcc, s20, v1
	s_xor_b64 s[14:15], exec, -1
	s_orn2_b64 s[4:5], vcc, exec
	s_branch .LBB21_33
.LBB21_38:
	s_mov_b64 s[4:5], 0
	s_and_saveexec_b64 s[6:7], s[8:9]
	s_cbranch_execnz .LBB21_41
	s_branch .LBB21_42
.LBB21_39:
	s_or_b64 exec, exec, s[8:9]
	s_mov_b64 s[4:5], exec
	s_orn2_b64 s[8:9], s[10:11], exec
.LBB21_40:
	s_or_b64 exec, exec, s[6:7]
	s_and_saveexec_b64 s[6:7], s[8:9]
	s_cbranch_execz .LBB21_42
.LBB21_41:
	s_mov_b64 s[46:47], exec
	s_barrier
	s_andn2_b64 s[4:5], s[4:5], exec
.LBB21_42:
	s_or_b64 exec, exec, s[6:7]
	s_mov_b64 s[36:37], 0
	s_mov_b64 s[34:35], 0
	s_and_saveexec_b64 s[6:7], s[4:5]
	s_xor_b64 s[38:39], exec, s[6:7]
	s_cbranch_execz .LBB21_44
; %bb.43:
	s_add_u32 s8, s26, 0x58
	s_addc_u32 s9, s27, 0
	s_getpc_b64 s[4:5]
	s_add_u32 s4, s4, .str.7@rel32@lo+4
	s_addc_u32 s5, s5, .str.7@rel32@hi+12
	s_getpc_b64 s[6:7]
	s_add_u32 s6, s6, .str.8@rel32@lo+4
	s_addc_u32 s7, s7, .str.8@rel32@hi+12
	s_getpc_b64 s[10:11]
	s_add_u32 s10, s10, __PRETTY_FUNCTION__._ZN9rocsolver6v33100L20shell_sort_ascendingIdiEEvT0_PT_PS2_@rel32@lo+4
	s_addc_u32 s11, s11, __PRETTY_FUNCTION__._ZN9rocsolver6v33100L20shell_sort_ascendingIdiEEvT0_PT_PS2_@rel32@hi+12
	s_getpc_b64 s[12:13]
	s_add_u32 s12, s12, __assert_fail@rel32@lo+4
	s_addc_u32 s13, s13, __assert_fail@rel32@hi+12
	v_mov_b32_e32 v44, v0
	v_mov_b32_e32 v0, s4
	;; [unrolled: 1-line block ×8, first 2 shown]
	s_swappc_b64 s[30:31], s[12:13]
	v_mov_b32_e32 v0, v44
	s_mov_b64 s[34:35], exec
.LBB21_44:
	s_or_b64 exec, exec, s[38:39]
	v_mov_b32_e32 v3, s54
	s_and_b64 vcc, exec, s[36:37]
	s_cbranch_vccz .LBB21_46
.LBB21_45:
	v_add3_u32 v41, v42, v0, v43
	v_mov_b32_e32 v3, s54
	s_or_b64 s[46:47], s[46:47], exec
.LBB21_46:
	s_and_saveexec_b64 s[36:37], s[46:47]
	s_cbranch_execz .LBB21_77
; %bb.47:
	s_cmp_lt_i32 s53, 1
	s_barrier
	s_cbranch_scc1 .LBB21_66
; %bb.48:
	s_load_dwordx2 s[8:9], s[26:27], 0x28
	s_mul_i32 s10, s45, s52
	s_mul_i32 s12, s44, s52
	s_mov_b32 s11, 0
	v_cmp_eq_u32_e64 s[4:5], 0, v41
	s_waitcnt lgkmcnt(0)
	s_ashr_i32 s7, s8, 31
	s_mov_b32 s6, s8
	s_mul_hi_u32 s8, s44, s52
	s_add_i32 s13, s8, s10
	s_lshl_b64 s[12:13], s[12:13], 3
	s_add_u32 s8, s42, s12
	s_addc_u32 s10, s43, s13
	s_lshl_b64 s[6:7], s[6:7], 3
	s_add_u32 s24, s8, s6
	s_addc_u32 s25, s10, s7
	s_cmp_lg_u64 s[28:29], 0
	v_cmp_gt_i32_e64 s[6:7], s49, v41
	s_mov_b32 s30, s9
	s_cselect_b64 s[12:13], -1, 0
	v_cmp_gt_i32_e64 s[8:9], s51, v41
	v_mov_b32_e32 v4, 0
	s_mov_b32 s10, s11
	s_branch .LBB21_50
.LBB21_49:                              ;   in Loop: Header=BB21_50 Depth=1
	s_add_i32 s10, s10, 1
	s_cmp_eq_u32 s10, s53
	s_cbranch_scc1 .LBB21_66
.LBB21_50:                              ; =>This Loop Header: Depth=1
                                        ;     Child Loop BB21_53 Depth 2
                                        ;       Child Loop BB21_57 Depth 3
                                        ;       Child Loop BB21_62 Depth 3
	s_lshl_b64 s[14:15], s[10:11], 2
	s_add_u32 s14, s48, s14
	s_addc_u32 s15, s50, s15
	s_barrier
	global_load_dword v0, v4, s[14:15]
	s_waitcnt vmcnt(0)
	v_cmp_eq_u32_e32 vcc, s10, v0
	v_readfirstlane_b32 s16, v0
	s_cbranch_vccz .LBB21_53
	s_branch .LBB21_49
.LBB21_51:                              ;   in Loop: Header=BB21_53 Depth=2
	s_or_b64 exec, exec, s[18:19]
	s_waitcnt vmcnt(0)
	s_barrier
.LBB21_52:                              ;   in Loop: Header=BB21_53 Depth=2
	global_load_dword v0, v4, s[14:15]
	s_waitcnt vmcnt(0)
	v_cmp_ne_u32_e32 vcc, s10, v0
	v_readfirstlane_b32 s16, v0
	s_cbranch_vccz .LBB21_49
.LBB21_53:                              ;   Parent Loop BB21_50 Depth=1
                                        ; =>  This Loop Header: Depth=2
                                        ;       Child Loop BB21_57 Depth 3
                                        ;       Child Loop BB21_62 Depth 3
	s_ashr_i32 s17, s16, 31
	s_lshl_b64 s[18:19], s[16:17], 2
	s_add_u32 s18, s48, s18
	s_addc_u32 s19, s50, s19
	global_load_dword v0, v4, s[18:19]
	s_waitcnt vmcnt(0)
	s_barrier
	v_readfirstlane_b32 s17, v0
	s_and_saveexec_b64 s[20:21], s[4:5]
	s_cbranch_execz .LBB21_55
; %bb.54:                               ;   in Loop: Header=BB21_53 Depth=2
	v_mov_b32_e32 v0, s16
	global_store_dword v4, v0, s[18:19]
	v_mov_b32_e32 v0, s17
	global_store_dword v4, v0, s[14:15]
.LBB21_55:                              ;   in Loop: Header=BB21_53 Depth=2
	s_or_b64 exec, exec, s[20:21]
	s_waitcnt vmcnt(0)
	s_barrier
	s_barrier
	s_and_saveexec_b64 s[18:19], s[6:7]
	s_cbranch_execz .LBB21_58
; %bb.56:                               ;   in Loop: Header=BB21_53 Depth=2
	s_mul_hi_i32 s21, s16, s30
	s_mul_i32 s20, s16, s30
	s_lshl_b64 s[20:21], s[20:21], 3
	s_mul_hi_i32 s39, s17, s30
	s_mul_i32 s38, s17, s30
	s_add_u32 s22, s24, s20
	s_addc_u32 s31, s25, s21
	s_lshl_b64 s[20:21], s[38:39], 3
	s_add_u32 s23, s24, s20
	s_addc_u32 s33, s25, s21
	s_mov_b64 s[20:21], 0
	v_mov_b32_e32 v2, s31
	v_mov_b32_e32 v5, s33
	;; [unrolled: 1-line block ×3, first 2 shown]
.LBB21_57:                              ;   Parent Loop BB21_50 Depth=1
                                        ;     Parent Loop BB21_53 Depth=2
                                        ; =>    This Inner Loop Header: Depth=3
	v_ashrrev_i32_e32 v1, 31, v0
	v_lshlrev_b64 v[6:7], 3, v[0:1]
	v_add_u32_e32 v0, v0, v3
	v_add_co_u32_e32 v8, vcc, s22, v6
	v_addc_co_u32_e32 v9, vcc, v2, v7, vcc
	v_add_co_u32_e32 v6, vcc, s23, v6
	v_addc_co_u32_e32 v7, vcc, v5, v7, vcc
	global_load_dwordx2 v[10:11], v[6:7], off
	global_load_dwordx2 v[12:13], v[8:9], off
	v_cmp_le_i32_e32 vcc, s49, v0
	s_or_b64 s[20:21], vcc, s[20:21]
	s_waitcnt vmcnt(1)
	global_store_dwordx2 v[8:9], v[10:11], off
	s_waitcnt vmcnt(1)
	global_store_dwordx2 v[6:7], v[12:13], off
	s_andn2_b64 exec, exec, s[20:21]
	s_cbranch_execnz .LBB21_57
.LBB21_58:                              ;   in Loop: Header=BB21_53 Depth=2
	s_or_b64 exec, exec, s[18:19]
	s_and_b64 vcc, exec, s[12:13]
	s_waitcnt vmcnt(0)
	s_barrier
	s_cbranch_vccz .LBB21_52
; %bb.59:                               ;   in Loop: Header=BB21_53 Depth=2
	s_barrier
	s_and_saveexec_b64 s[18:19], s[8:9]
	s_cbranch_execz .LBB21_51
; %bb.60:                               ;   in Loop: Header=BB21_53 Depth=2
	s_add_i32 s31, s16, 1
	s_add_i32 s33, s17, 1
	s_mov_b64 s[16:17], 0
	v_mov_b32_e32 v0, v41
	s_branch .LBB21_62
.LBB21_61:                              ;   in Loop: Header=BB21_62 Depth=3
	s_or_b64 exec, exec, s[22:23]
	v_add_u32_e32 v0, v0, v3
	v_cmp_le_i32_e32 vcc, s51, v0
	s_or_b64 s[16:17], vcc, s[16:17]
	s_andn2_b64 exec, exec, s[16:17]
	s_cbranch_execz .LBB21_51
.LBB21_62:                              ;   Parent Loop BB21_50 Depth=1
                                        ;     Parent Loop BB21_53 Depth=2
                                        ; =>    This Inner Loop Header: Depth=3
	v_ashrrev_i32_e32 v1, 31, v0
	v_lshlrev_b64 v[1:2], 2, v[0:1]
	v_mov_b32_e32 v5, s29
	v_add_co_u32_e32 v1, vcc, s28, v1
	v_addc_co_u32_e32 v2, vcc, v5, v2, vcc
	global_load_dword v6, v[1:2], off
	v_mov_b32_e32 v5, s33
	s_waitcnt vmcnt(0)
	v_cmp_eq_u32_e64 s[20:21], s31, v6
	v_cmp_ne_u32_e32 vcc, s31, v6
	s_and_saveexec_b64 s[22:23], vcc
; %bb.63:                               ;   in Loop: Header=BB21_62 Depth=3
	v_cmp_eq_u32_e32 vcc, s33, v6
	s_andn2_b64 s[20:21], s[20:21], exec
	s_and_b64 s[38:39], vcc, exec
	v_mov_b32_e32 v5, s31
	s_or_b64 s[20:21], s[20:21], s[38:39]
; %bb.64:                               ;   in Loop: Header=BB21_62 Depth=3
	s_or_b64 exec, exec, s[22:23]
	s_and_saveexec_b64 s[22:23], s[20:21]
	s_cbranch_execz .LBB21_61
; %bb.65:                               ;   in Loop: Header=BB21_62 Depth=3
	global_store_dword v[1:2], v5, off
	s_branch .LBB21_61
.LBB21_66:
	v_cmp_gt_u32_e32 vcc, s53, v41
	s_mov_b64 s[8:9], -1
	s_mov_b64 s[6:7], 0
	s_barrier
	s_and_saveexec_b64 s[4:5], vcc
	s_cbranch_execz .LBB21_72
; %bb.67:
	v_mov_b32_e32 v42, 0
	v_mov_b32_e32 v0, s50
                                        ; implicit-def: $sgpr8_sgpr9
                                        ; implicit-def: $sgpr12_sgpr13
                                        ; implicit-def: $sgpr10_sgpr11
	s_branch .LBB21_69
.LBB21_68:                              ;   in Loop: Header=BB21_69 Depth=1
	s_or_b64 exec, exec, s[14:15]
	s_xor_b64 s[14:15], s[10:11], -1
	s_and_b64 s[16:17], exec, s[12:13]
	s_or_b64 s[6:7], s[16:17], s[6:7]
	s_andn2_b64 s[8:9], s[8:9], exec
	s_and_b64 s[14:15], s[14:15], exec
	s_or_b64 s[8:9], s[8:9], s[14:15]
	s_andn2_b64 exec, exec, s[6:7]
	s_cbranch_execz .LBB21_71
.LBB21_69:                              ; =>This Inner Loop Header: Depth=1
	v_lshlrev_b64 v[1:2], 2, v[41:42]
	s_or_b64 s[10:11], s[10:11], exec
	v_add_co_u32_e32 v1, vcc, s48, v1
	v_addc_co_u32_e32 v2, vcc, v0, v2, vcc
	global_load_dword v1, v[1:2], off
	s_or_b64 s[12:13], s[12:13], exec
	s_waitcnt vmcnt(0)
	v_cmp_eq_u32_e32 vcc, v41, v1
	s_and_saveexec_b64 s[14:15], vcc
	s_cbranch_execz .LBB21_68
; %bb.70:                               ;   in Loop: Header=BB21_69 Depth=1
	v_add_u32_e32 v41, v41, v3
	v_cmp_le_u32_e32 vcc, s53, v41
	s_andn2_b64 s[12:13], s[12:13], exec
	s_and_b64 s[16:17], vcc, exec
	s_andn2_b64 s[10:11], s[10:11], exec
	s_or_b64 s[12:13], s[12:13], s[16:17]
	s_branch .LBB21_68
.LBB21_71:
	s_or_b64 exec, exec, s[6:7]
	s_mov_b64 s[6:7], exec
	s_orn2_b64 s[8:9], s[8:9], exec
.LBB21_72:
	s_or_b64 exec, exec, s[4:5]
	s_and_saveexec_b64 s[4:5], s[8:9]
	s_cbranch_execz .LBB21_74
; %bb.73:
	s_andn2_b64 s[6:7], s[6:7], exec
	s_barrier
	s_barrier
.LBB21_74:
	s_or_b64 exec, exec, s[4:5]
	s_mov_b64 s[4:5], s[34:35]
	s_and_saveexec_b64 s[8:9], s[6:7]
	s_xor_b64 s[28:29], exec, s[8:9]
	s_cbranch_execz .LBB21_76
; %bb.75:
	s_add_u32 s8, s26, 0x58
	s_addc_u32 s9, s27, 0
	s_getpc_b64 s[4:5]
	s_add_u32 s4, s4, .str.10@rel32@lo+4
	s_addc_u32 s5, s5, .str.10@rel32@hi+12
	s_getpc_b64 s[6:7]
	s_add_u32 s6, s6, .str.5@rel32@lo+4
	s_addc_u32 s7, s7, .str.5@rel32@hi+12
	s_getpc_b64 s[10:11]
	s_add_u32 s10, s10, __PRETTY_FUNCTION__._ZN9rocsolver6v33100L18syevx_permute_swapIdEEviiiPiPT_iS2_@rel32@lo+4
	s_addc_u32 s11, s11, __PRETTY_FUNCTION__._ZN9rocsolver6v33100L18syevx_permute_swapIdEEviiiPiPT_iS2_@rel32@hi+12
	s_getpc_b64 s[12:13]
	s_add_u32 s12, s12, __assert_fail@rel32@lo+4
	s_addc_u32 s13, s13, __assert_fail@rel32@hi+12
	v_mov_b32_e32 v0, s4
	v_mov_b32_e32 v1, s5
	;; [unrolled: 1-line block ×7, first 2 shown]
	s_swappc_b64 s[30:31], s[12:13]
	s_or_b64 s[4:5], s[34:35], exec
.LBB21_76:
	s_or_b64 exec, exec, s[28:29]
	s_andn2_b64 s[6:7], s[34:35], exec
	s_and_b64 s[4:5], s[4:5], exec
	s_or_b64 s[34:35], s[6:7], s[4:5]
.LBB21_77:
	s_or_b64 exec, exec, s[36:37]
	s_branch .LBB21_79
.LBB21_78:
	s_add_u32 s8, s26, 0x58
	s_addc_u32 s9, s27, 0
	s_getpc_b64 s[4:5]
	s_add_u32 s4, s4, .str.6@rel32@lo+4
	s_addc_u32 s5, s5, .str.6@rel32@hi+12
	s_getpc_b64 s[6:7]
	s_add_u32 s6, s6, .str.5@rel32@lo+4
	s_addc_u32 s7, s7, .str.5@rel32@hi+12
	s_getpc_b64 s[10:11]
	s_add_u32 s10, s10, __PRETTY_FUNCTION__._ZN9rocsolver6v33100L15syevx_sort_eigsIddPdEEviPiPT0_lT1_iilS3_lS3_S3_@rel32@lo+4
	s_addc_u32 s11, s11, __PRETTY_FUNCTION__._ZN9rocsolver6v33100L15syevx_sort_eigsIddPdEEviPiPT0_lT1_iilS3_lS3_S3_@rel32@hi+12
	s_getpc_b64 s[12:13]
	s_add_u32 s12, s12, __assert_fail@rel32@lo+4
	s_addc_u32 s13, s13, __assert_fail@rel32@hi+12
	v_mov_b32_e32 v0, s4
	v_mov_b32_e32 v1, s5
	;; [unrolled: 1-line block ×7, first 2 shown]
	s_swappc_b64 s[30:31], s[12:13]
	s_or_b64 s[34:35], s[34:35], exec
.LBB21_79:
	s_branch .LBB21_4
.LBB21_80:
	s_add_u32 s8, s26, 0x58
	s_addc_u32 s9, s27, 0
	s_getpc_b64 s[4:5]
	s_add_u32 s4, s4, .str.4@rel32@lo+4
	s_addc_u32 s5, s5, .str.4@rel32@hi+12
	s_getpc_b64 s[6:7]
	s_add_u32 s6, s6, .str.5@rel32@lo+4
	s_addc_u32 s7, s7, .str.5@rel32@hi+12
	s_getpc_b64 s[10:11]
	s_add_u32 s10, s10, __PRETTY_FUNCTION__._ZN9rocsolver6v33100L15syevx_sort_eigsIddPdEEviPiPT0_lT1_iilS3_lS3_S3_@rel32@lo+4
	s_addc_u32 s11, s11, __PRETTY_FUNCTION__._ZN9rocsolver6v33100L15syevx_sort_eigsIddPdEEviPiPT0_lT1_iilS3_lS3_S3_@rel32@hi+12
	s_getpc_b64 s[12:13]
	s_add_u32 s12, s12, __assert_fail@rel32@lo+4
	s_addc_u32 s13, s13, __assert_fail@rel32@hi+12
	v_mov_b32_e32 v0, s4
	v_mov_b32_e32 v1, s5
	;; [unrolled: 1-line block ×7, first 2 shown]
	s_swappc_b64 s[30:31], s[12:13]
	s_or_b64 s[34:35], s[34:35], exec
	s_and_saveexec_b64 s[4:5], s[34:35]
	s_cbranch_execz .LBB21_5
.LBB21_81:
	; divergent unreachable
	s_endpgm
	.section	.rodata,"a",@progbits
	.p2align	6, 0x0
	.amdhsa_kernel _ZN9rocsolver6v33100L15syevx_sort_eigsIddPdEEviPiPT0_lT1_iilS3_lS3_S3_
		.amdhsa_group_segment_fixed_size 0
		.amdhsa_private_segment_fixed_size 64
		.amdhsa_kernarg_size 344
		.amdhsa_user_sgpr_count 8
		.amdhsa_user_sgpr_private_segment_buffer 1
		.amdhsa_user_sgpr_dispatch_ptr 0
		.amdhsa_user_sgpr_queue_ptr 0
		.amdhsa_user_sgpr_kernarg_segment_ptr 1
		.amdhsa_user_sgpr_dispatch_id 0
		.amdhsa_user_sgpr_flat_scratch_init 1
		.amdhsa_user_sgpr_private_segment_size 0
		.amdhsa_uses_dynamic_stack 0
		.amdhsa_system_sgpr_private_segment_wavefront_offset 1
		.amdhsa_system_sgpr_workgroup_id_x 1
		.amdhsa_system_sgpr_workgroup_id_y 1
		.amdhsa_system_sgpr_workgroup_id_z 0
		.amdhsa_system_sgpr_workgroup_info 0
		.amdhsa_system_vgpr_workitem_id 2
		.amdhsa_next_free_vgpr 53
		.amdhsa_next_free_sgpr 55
		.amdhsa_reserve_vcc 1
		.amdhsa_reserve_flat_scratch 1
		.amdhsa_float_round_mode_32 0
		.amdhsa_float_round_mode_16_64 0
		.amdhsa_float_denorm_mode_32 3
		.amdhsa_float_denorm_mode_16_64 3
		.amdhsa_dx10_clamp 1
		.amdhsa_ieee_mode 1
		.amdhsa_fp16_overflow 0
		.amdhsa_exception_fp_ieee_invalid_op 0
		.amdhsa_exception_fp_denorm_src 0
		.amdhsa_exception_fp_ieee_div_zero 0
		.amdhsa_exception_fp_ieee_overflow 0
		.amdhsa_exception_fp_ieee_underflow 0
		.amdhsa_exception_fp_ieee_inexact 0
		.amdhsa_exception_int_div_zero 0
	.end_amdhsa_kernel
	.section	.text._ZN9rocsolver6v33100L15syevx_sort_eigsIddPdEEviPiPT0_lT1_iilS3_lS3_S3_,"axG",@progbits,_ZN9rocsolver6v33100L15syevx_sort_eigsIddPdEEviPiPT0_lT1_iilS3_lS3_S3_,comdat
.Lfunc_end21:
	.size	_ZN9rocsolver6v33100L15syevx_sort_eigsIddPdEEviPiPT0_lT1_iilS3_lS3_S3_, .Lfunc_end21-_ZN9rocsolver6v33100L15syevx_sort_eigsIddPdEEviPiPT0_lT1_iilS3_lS3_S3_
                                        ; -- End function
	.set _ZN9rocsolver6v33100L15syevx_sort_eigsIddPdEEviPiPT0_lT1_iilS3_lS3_S3_.num_vgpr, max(45, .L__assert_fail.num_vgpr)
	.set _ZN9rocsolver6v33100L15syevx_sort_eigsIddPdEEviPiPT0_lT1_iilS3_lS3_S3_.num_agpr, max(0, .L__assert_fail.num_agpr)
	.set _ZN9rocsolver6v33100L15syevx_sort_eigsIddPdEEviPiPT0_lT1_iilS3_lS3_S3_.numbered_sgpr, max(55, .L__assert_fail.numbered_sgpr)
	.set _ZN9rocsolver6v33100L15syevx_sort_eigsIddPdEEviPiPT0_lT1_iilS3_lS3_S3_.num_named_barrier, max(0, .L__assert_fail.num_named_barrier)
	.set _ZN9rocsolver6v33100L15syevx_sort_eigsIddPdEEviPiPT0_lT1_iilS3_lS3_S3_.private_seg_size, 0+max(.L__assert_fail.private_seg_size)
	.set _ZN9rocsolver6v33100L15syevx_sort_eigsIddPdEEviPiPT0_lT1_iilS3_lS3_S3_.uses_vcc, or(1, .L__assert_fail.uses_vcc)
	.set _ZN9rocsolver6v33100L15syevx_sort_eigsIddPdEEviPiPT0_lT1_iilS3_lS3_S3_.uses_flat_scratch, or(1, .L__assert_fail.uses_flat_scratch)
	.set _ZN9rocsolver6v33100L15syevx_sort_eigsIddPdEEviPiPT0_lT1_iilS3_lS3_S3_.has_dyn_sized_stack, or(0, .L__assert_fail.has_dyn_sized_stack)
	.set _ZN9rocsolver6v33100L15syevx_sort_eigsIddPdEEviPiPT0_lT1_iilS3_lS3_S3_.has_recursion, or(0, .L__assert_fail.has_recursion)
	.set _ZN9rocsolver6v33100L15syevx_sort_eigsIddPdEEviPiPT0_lT1_iilS3_lS3_S3_.has_indirect_call, or(0, .L__assert_fail.has_indirect_call)
	.section	.AMDGPU.csdata,"",@progbits
; Kernel info:
; codeLenInByte = 2688
; TotalNumSgprs: 61
; NumVgprs: 53
; ScratchSize: 64
; MemoryBound: 0
; FloatMode: 240
; IeeeMode: 1
; LDSByteSize: 0 bytes/workgroup (compile time only)
; SGPRBlocks: 7
; VGPRBlocks: 13
; NumSGPRsForWavesPerEU: 61
; NumVGPRsForWavesPerEU: 53
; Occupancy: 4
; WaveLimiterHint : 1
; COMPUTE_PGM_RSRC2:SCRATCH_EN: 1
; COMPUTE_PGM_RSRC2:USER_SGPR: 8
; COMPUTE_PGM_RSRC2:TRAP_HANDLER: 0
; COMPUTE_PGM_RSRC2:TGID_X_EN: 1
; COMPUTE_PGM_RSRC2:TGID_Y_EN: 1
; COMPUTE_PGM_RSRC2:TGID_Z_EN: 0
; COMPUTE_PGM_RSRC2:TIDIG_COMP_CNT: 2
	.section	.text._ZN9rocsolver6v33100L19bdsvdx_reorder_vectIdPdEEv13rocblas_fill_iPiPT_lT0_iilS6_,"axG",@progbits,_ZN9rocsolver6v33100L19bdsvdx_reorder_vectIdPdEEv13rocblas_fill_iPiPT_lT0_iilS6_,comdat
	.globl	_ZN9rocsolver6v33100L19bdsvdx_reorder_vectIdPdEEv13rocblas_fill_iPiPT_lT0_iilS6_ ; -- Begin function _ZN9rocsolver6v33100L19bdsvdx_reorder_vectIdPdEEv13rocblas_fill_iPiPT_lT0_iilS6_
	.p2align	8
	.type	_ZN9rocsolver6v33100L19bdsvdx_reorder_vectIdPdEEv13rocblas_fill_iPiPT_lT0_iilS6_,@function
_ZN9rocsolver6v33100L19bdsvdx_reorder_vectIdPdEEv13rocblas_fill_iPiPT_lT0_iilS6_: ; @_ZN9rocsolver6v33100L19bdsvdx_reorder_vectIdPdEEv13rocblas_fill_iPiPT_lT0_iilS6_
; %bb.0:
	s_load_dwordx8 s[8:15], s[4:5], 0x8
	s_load_dwordx2 s[20:21], s[4:5], 0x0
	s_mov_b32 s2, s7
	s_ashr_i32 s3, s7, 31
	s_lshl_b64 s[0:1], s[2:3], 2
	s_waitcnt lgkmcnt(0)
	s_add_u32 s0, s8, s0
	s_addc_u32 s1, s9, s1
	s_load_dword s22, s[0:1], 0x0
	s_waitcnt lgkmcnt(0)
	s_cmp_le_i32 s22, s21
	s_cbranch_scc1 .LBB22_4
; %bb.1:
	v_cmp_eq_u32_e32 vcc, 0, v0
	s_and_saveexec_b64 s[6:7], vcc
	s_cbranch_execz .LBB22_3
; %bb.2:
	v_mov_b32_e32 v1, 0
	v_mov_b32_e32 v2, s21
	global_store_dword v1, v2, s[0:1]
.LBB22_3:
	s_or_b64 exec, exec, s[6:7]
	s_mov_b32 s22, s21
.LBB22_4:
	s_load_dwordx4 s[16:19], s[4:5], 0x30
	s_mul_i32 s0, s2, s21
	s_lshl_b32 s0, s0, 1
	s_ashr_i32 s1, s0, 31
	s_lshl_b64 s[0:1], s[0:1], 3
	s_waitcnt lgkmcnt(0)
	s_add_u32 s23, s18, s0
	s_addc_u32 s24, s19, s1
	v_cmp_gt_i32_e32 vcc, s22, v0
	s_and_saveexec_b64 s[6:7], vcc
	s_cbranch_execz .LBB22_7
; %bb.5:
	s_mul_i32 s0, s12, s3
	s_mul_hi_u32 s1, s12, s2
	s_add_i32 s0, s1, s0
	s_mul_i32 s1, s13, s2
	s_load_dword s8, s[4:5], 0x4c
	s_add_i32 s1, s0, s1
	s_mul_i32 s0, s12, s2
	s_lshl_b64 s[0:1], s[0:1], 3
	s_add_u32 s10, s10, s0
	s_addc_u32 s0, s11, s1
	s_waitcnt lgkmcnt(0)
	s_and_b32 s11, s8, 0xffff
	s_mov_b64 s[8:9], 0
	v_mov_b32_e32 v3, s24
	v_mov_b32_e32 v4, s0
	;; [unrolled: 1-line block ×3, first 2 shown]
.LBB22_6:                               ; =>This Inner Loop Header: Depth=1
	v_ashrrev_i32_e32 v2, 31, v1
	v_lshlrev_b64 v[5:6], 3, v[1:2]
	v_add_u32_e32 v1, s11, v1
	v_add_co_u32_e32 v7, vcc, s23, v5
	v_addc_co_u32_e32 v8, vcc, v3, v6, vcc
	global_load_dwordx2 v[7:8], v[7:8], off
	v_cmp_le_i32_e32 vcc, s22, v1
	v_add_co_u32_e64 v5, s[0:1], s10, v5
	v_addc_co_u32_e64 v6, s[0:1], v4, v6, s[0:1]
	s_or_b64 s[8:9], vcc, s[8:9]
	s_waitcnt vmcnt(0)
	v_xor_b32_e32 v8, 0x80000000, v8
	global_store_dwordx2 v[5:6], v[7:8], off
	s_andn2_b64 exec, exec, s[8:9]
	s_cbranch_execnz .LBB22_6
.LBB22_7:
	s_or_b64 exec, exec, s[6:7]
	s_cmp_lt_i32 s22, 1
	s_waitcnt vmcnt(0)
	s_barrier
	s_cbranch_scc1 .LBB22_23
; %bb.8:
	s_load_dwordx2 s[8:9], s[4:5], 0x28
	s_mul_i32 s0, s16, s3
	s_mul_hi_u32 s1, s16, s2
	s_add_i32 s3, s1, s0
	s_mul_i32 s6, s17, s2
	s_add_i32 s3, s3, s6
	s_mul_i32 s2, s16, s2
	s_waitcnt lgkmcnt(0)
	s_ashr_i32 s1, s8, 31
	s_lshl_b64 s[2:3], s[2:3], 3
	s_mov_b32 s0, s8
	s_add_u32 s2, s14, s2
	s_addc_u32 s3, s15, s3
	s_lshl_b64 s[0:1], s[0:1], 3
	s_add_u32 s8, s2, s0
	s_addc_u32 s25, s3, s1
	s_lshl_b32 s26, s21, 1
	s_add_u32 s10, s4, 64
	s_addc_u32 s11, s5, 0
	s_cmpk_lg_i32 s20, 0x79
	s_cselect_b64 s[4:5], -1, 0
	v_cndmask_b32_e64 v1, 0, 1, s[4:5]
	s_mov_b32 s12, 0x667f3bcd
	v_cmp_gt_i32_e64 s[0:1], s26, v0
	v_cmp_gt_i32_e64 s[2:3], s21, v0
	v_lshlrev_b32_e32 v3, 1, v0
	s_mov_b32 s20, 0
	v_cmp_ne_u32_e64 s[4:5], 1, v1
	s_mov_b32 s13, 0x3ff6a09e
	s_mov_b32 s15, 0xbff6a09e
	;; [unrolled: 1-line block ×4, first 2 shown]
	s_branch .LBB22_11
.LBB22_9:                               ;   in Loop: Header=BB22_11 Depth=1
	s_or_b64 exec, exec, s[6:7]
.LBB22_10:                              ;   in Loop: Header=BB22_11 Depth=1
	s_add_i32 s28, s28, 1
	s_add_i32 s20, s20, s9
	;; [unrolled: 1-line block ×3, first 2 shown]
	s_cmp_lg_u32 s28, s22
	s_waitcnt vmcnt(0)
	s_barrier
	s_cbranch_scc0 .LBB22_23
.LBB22_11:                              ; =>This Loop Header: Depth=1
                                        ;     Child Loop BB22_13 Depth 2
                                        ;     Child Loop BB22_17 Depth 2
	;; [unrolled: 1-line block ×3, first 2 shown]
	s_and_saveexec_b64 s[16:17], s[0:1]
	s_cbranch_execz .LBB22_14
; %bb.12:                               ;   in Loop: Header=BB22_11 Depth=1
	s_load_dword s6, s[10:11], 0xc
	s_mov_b64 s[18:19], 0
	v_mov_b32_e32 v1, v0
	s_waitcnt lgkmcnt(0)
	s_and_b32 s14, s6, 0xffff
.LBB22_13:                              ;   Parent Loop BB22_11 Depth=1
                                        ; =>  This Inner Loop Header: Depth=2
	v_add_u32_e32 v4, s20, v1
	v_ashrrev_i32_e32 v5, 31, v4
	v_lshlrev_b64 v[4:5], 3, v[4:5]
	v_mov_b32_e32 v2, s25
	v_add_co_u32_e32 v4, vcc, s8, v4
	v_addc_co_u32_e32 v5, vcc, v2, v5, vcc
	global_load_dwordx2 v[4:5], v[4:5], off
	v_ashrrev_i32_e32 v2, 31, v1
	v_lshlrev_b64 v[6:7], 3, v[1:2]
	v_add_u32_e32 v1, s14, v1
	v_mov_b32_e32 v8, s24
	v_cmp_le_i32_e32 vcc, s26, v1
	v_add_co_u32_e64 v6, s[6:7], s23, v6
	v_addc_co_u32_e64 v7, s[6:7], v8, v7, s[6:7]
	s_or_b64 s[18:19], vcc, s[18:19]
	s_waitcnt vmcnt(0)
	global_store_dwordx2 v[6:7], v[4:5], off
	s_andn2_b64 exec, exec, s[18:19]
	s_cbranch_execnz .LBB22_13
.LBB22_14:                              ;   in Loop: Header=BB22_11 Depth=1
	s_or_b64 exec, exec, s[16:17]
	s_and_b64 vcc, exec, s[4:5]
	s_mov_b64 s[6:7], -1
	s_waitcnt vmcnt(0)
	s_barrier
	s_cbranch_vccnz .LBB22_19
; %bb.15:                               ;   in Loop: Header=BB22_11 Depth=1
	s_and_saveexec_b64 s[6:7], s[2:3]
	s_cbranch_execz .LBB22_18
; %bb.16:                               ;   in Loop: Header=BB22_11 Depth=1
	s_load_dword s14, s[10:11], 0xc
	s_mov_b64 s[16:17], 0
	v_mov_b32_e32 v1, v3
	v_mov_b32_e32 v4, v0
	s_waitcnt lgkmcnt(0)
	s_and_b32 s18, s14, 0xffff
	s_lshl_b32 s19, s18, 1
.LBB22_17:                              ;   Parent Loop BB22_11 Depth=1
                                        ; =>  This Inner Loop Header: Depth=2
	v_ashrrev_i32_e32 v2, 31, v1
	v_lshlrev_b64 v[5:6], 3, v[1:2]
	v_mov_b32_e32 v7, s24
	v_add_co_u32_e32 v5, vcc, s23, v5
	v_addc_co_u32_e32 v6, vcc, v7, v6, vcc
	global_load_dwordx2 v[7:8], v[5:6], off
	v_add_u32_e32 v9, s20, v4
	v_ashrrev_i32_e32 v10, 31, v9
	v_lshlrev_b64 v[9:10], 3, v[9:10]
	v_mov_b32_e32 v2, s25
	v_add_co_u32_e32 v9, vcc, s8, v9
	v_addc_co_u32_e32 v10, vcc, v2, v10, vcc
	s_mov_b32 s14, s12
	v_add_u32_e32 v1, s19, v1
	s_waitcnt vmcnt(0)
	v_mul_f64 v[7:8], v[7:8], s[12:13]
	global_store_dwordx2 v[9:10], v[7:8], off
	global_load_dwordx2 v[5:6], v[5:6], off offset:8
	v_add_u32_e32 v7, s27, v4
	v_ashrrev_i32_e32 v8, 31, v7
	v_add_u32_e32 v4, s18, v4
	v_lshlrev_b64 v[7:8], 3, v[7:8]
	v_cmp_le_i32_e32 vcc, s21, v4
	s_or_b64 s[16:17], vcc, s[16:17]
	v_add_co_u32_e32 v7, vcc, s8, v7
	v_addc_co_u32_e32 v8, vcc, v2, v8, vcc
	s_waitcnt vmcnt(0)
	v_mul_f64 v[5:6], v[5:6], s[14:15]
	global_store_dwordx2 v[7:8], v[5:6], off
	s_andn2_b64 exec, exec, s[16:17]
	s_cbranch_execnz .LBB22_17
.LBB22_18:                              ;   in Loop: Header=BB22_11 Depth=1
	s_or_b64 exec, exec, s[6:7]
	s_mov_b64 s[6:7], 0
.LBB22_19:                              ;   in Loop: Header=BB22_11 Depth=1
	s_andn2_b64 vcc, exec, s[6:7]
	s_cbranch_vccnz .LBB22_10
; %bb.20:                               ;   in Loop: Header=BB22_11 Depth=1
	s_and_saveexec_b64 s[6:7], s[2:3]
	s_cbranch_execz .LBB22_9
; %bb.21:                               ;   in Loop: Header=BB22_11 Depth=1
	s_load_dword s14, s[10:11], 0xc
	s_mov_b64 s[16:17], 0
	v_mov_b32_e32 v1, v3
	v_mov_b32_e32 v4, v0
	s_waitcnt lgkmcnt(0)
	s_and_b32 s18, s14, 0xffff
	s_lshl_b32 s19, s18, 1
.LBB22_22:                              ;   Parent Loop BB22_11 Depth=1
                                        ; =>  This Inner Loop Header: Depth=2
	v_ashrrev_i32_e32 v2, 31, v1
	v_lshlrev_b64 v[5:6], 3, v[1:2]
	v_mov_b32_e32 v7, s24
	v_add_co_u32_e32 v5, vcc, s23, v5
	v_addc_co_u32_e32 v6, vcc, v7, v6, vcc
	global_load_dwordx2 v[7:8], v[5:6], off offset:8
	v_add_u32_e32 v9, s20, v4
	v_ashrrev_i32_e32 v10, 31, v9
	v_lshlrev_b64 v[9:10], 3, v[9:10]
	v_mov_b32_e32 v2, s25
	v_add_co_u32_e32 v9, vcc, s8, v9
	v_addc_co_u32_e32 v10, vcc, v2, v10, vcc
	s_mov_b32 s14, s12
	v_add_u32_e32 v1, s19, v1
	s_waitcnt vmcnt(0)
	v_mul_f64 v[7:8], v[7:8], s[12:13]
	global_store_dwordx2 v[9:10], v[7:8], off
	global_load_dwordx2 v[5:6], v[5:6], off
	v_add_u32_e32 v7, s27, v4
	v_ashrrev_i32_e32 v8, 31, v7
	v_add_u32_e32 v4, s18, v4
	v_lshlrev_b64 v[7:8], 3, v[7:8]
	v_cmp_le_i32_e32 vcc, s21, v4
	s_or_b64 s[16:17], vcc, s[16:17]
	v_add_co_u32_e32 v7, vcc, s8, v7
	v_addc_co_u32_e32 v8, vcc, v2, v8, vcc
	s_waitcnt vmcnt(0)
	v_mul_f64 v[5:6], v[5:6], s[14:15]
	global_store_dwordx2 v[7:8], v[5:6], off
	s_andn2_b64 exec, exec, s[16:17]
	s_cbranch_execnz .LBB22_22
	s_branch .LBB22_9
.LBB22_23:
	s_endpgm
	.section	.rodata,"a",@progbits
	.p2align	6, 0x0
	.amdhsa_kernel _ZN9rocsolver6v33100L19bdsvdx_reorder_vectIdPdEEv13rocblas_fill_iPiPT_lT0_iilS6_
		.amdhsa_group_segment_fixed_size 0
		.amdhsa_private_segment_fixed_size 0
		.amdhsa_kernarg_size 320
		.amdhsa_user_sgpr_count 6
		.amdhsa_user_sgpr_private_segment_buffer 1
		.amdhsa_user_sgpr_dispatch_ptr 0
		.amdhsa_user_sgpr_queue_ptr 0
		.amdhsa_user_sgpr_kernarg_segment_ptr 1
		.amdhsa_user_sgpr_dispatch_id 0
		.amdhsa_user_sgpr_flat_scratch_init 0
		.amdhsa_user_sgpr_private_segment_size 0
		.amdhsa_uses_dynamic_stack 0
		.amdhsa_system_sgpr_private_segment_wavefront_offset 0
		.amdhsa_system_sgpr_workgroup_id_x 1
		.amdhsa_system_sgpr_workgroup_id_y 1
		.amdhsa_system_sgpr_workgroup_id_z 0
		.amdhsa_system_sgpr_workgroup_info 0
		.amdhsa_system_vgpr_workitem_id 0
		.amdhsa_next_free_vgpr 11
		.amdhsa_next_free_sgpr 29
		.amdhsa_reserve_vcc 1
		.amdhsa_reserve_flat_scratch 0
		.amdhsa_float_round_mode_32 0
		.amdhsa_float_round_mode_16_64 0
		.amdhsa_float_denorm_mode_32 3
		.amdhsa_float_denorm_mode_16_64 3
		.amdhsa_dx10_clamp 1
		.amdhsa_ieee_mode 1
		.amdhsa_fp16_overflow 0
		.amdhsa_exception_fp_ieee_invalid_op 0
		.amdhsa_exception_fp_denorm_src 0
		.amdhsa_exception_fp_ieee_div_zero 0
		.amdhsa_exception_fp_ieee_overflow 0
		.amdhsa_exception_fp_ieee_underflow 0
		.amdhsa_exception_fp_ieee_inexact 0
		.amdhsa_exception_int_div_zero 0
	.end_amdhsa_kernel
	.section	.text._ZN9rocsolver6v33100L19bdsvdx_reorder_vectIdPdEEv13rocblas_fill_iPiPT_lT0_iilS6_,"axG",@progbits,_ZN9rocsolver6v33100L19bdsvdx_reorder_vectIdPdEEv13rocblas_fill_iPiPT_lT0_iilS6_,comdat
.Lfunc_end22:
	.size	_ZN9rocsolver6v33100L19bdsvdx_reorder_vectIdPdEEv13rocblas_fill_iPiPT_lT0_iilS6_, .Lfunc_end22-_ZN9rocsolver6v33100L19bdsvdx_reorder_vectIdPdEEv13rocblas_fill_iPiPT_lT0_iilS6_
                                        ; -- End function
	.set _ZN9rocsolver6v33100L19bdsvdx_reorder_vectIdPdEEv13rocblas_fill_iPiPT_lT0_iilS6_.num_vgpr, 11
	.set _ZN9rocsolver6v33100L19bdsvdx_reorder_vectIdPdEEv13rocblas_fill_iPiPT_lT0_iilS6_.num_agpr, 0
	.set _ZN9rocsolver6v33100L19bdsvdx_reorder_vectIdPdEEv13rocblas_fill_iPiPT_lT0_iilS6_.numbered_sgpr, 29
	.set _ZN9rocsolver6v33100L19bdsvdx_reorder_vectIdPdEEv13rocblas_fill_iPiPT_lT0_iilS6_.num_named_barrier, 0
	.set _ZN9rocsolver6v33100L19bdsvdx_reorder_vectIdPdEEv13rocblas_fill_iPiPT_lT0_iilS6_.private_seg_size, 0
	.set _ZN9rocsolver6v33100L19bdsvdx_reorder_vectIdPdEEv13rocblas_fill_iPiPT_lT0_iilS6_.uses_vcc, 1
	.set _ZN9rocsolver6v33100L19bdsvdx_reorder_vectIdPdEEv13rocblas_fill_iPiPT_lT0_iilS6_.uses_flat_scratch, 0
	.set _ZN9rocsolver6v33100L19bdsvdx_reorder_vectIdPdEEv13rocblas_fill_iPiPT_lT0_iilS6_.has_dyn_sized_stack, 0
	.set _ZN9rocsolver6v33100L19bdsvdx_reorder_vectIdPdEEv13rocblas_fill_iPiPT_lT0_iilS6_.has_recursion, 0
	.set _ZN9rocsolver6v33100L19bdsvdx_reorder_vectIdPdEEv13rocblas_fill_iPiPT_lT0_iilS6_.has_indirect_call, 0
	.section	.AMDGPU.csdata,"",@progbits
; Kernel info:
; codeLenInByte = 1108
; TotalNumSgprs: 33
; NumVgprs: 11
; ScratchSize: 0
; MemoryBound: 0
; FloatMode: 240
; IeeeMode: 1
; LDSByteSize: 0 bytes/workgroup (compile time only)
; SGPRBlocks: 4
; VGPRBlocks: 2
; NumSGPRsForWavesPerEU: 33
; NumVGPRsForWavesPerEU: 11
; Occupancy: 10
; WaveLimiterHint : 0
; COMPUTE_PGM_RSRC2:SCRATCH_EN: 0
; COMPUTE_PGM_RSRC2:USER_SGPR: 6
; COMPUTE_PGM_RSRC2:TRAP_HANDLER: 0
; COMPUTE_PGM_RSRC2:TGID_X_EN: 1
; COMPUTE_PGM_RSRC2:TGID_Y_EN: 1
; COMPUTE_PGM_RSRC2:TGID_Z_EN: 0
; COMPUTE_PGM_RSRC2:TIDIG_COMP_CNT: 0
	.section	.AMDGPU.gpr_maximums,"",@progbits
	.set amdgpu.max_num_vgpr, 53
	.set amdgpu.max_num_agpr, 0
	.set amdgpu.max_num_sgpr, 34
	.section	.AMDGPU.csdata,"",@progbits
	.type	__const.__assert_fail.fmt,@object ; @__const.__assert_fail.fmt
	.section	.rodata.str1.16,"aMS",@progbits,1
	.p2align	4, 0x0
__const.__assert_fail.fmt:
	.asciz	"%s:%u: %s: Device-side assertion `%s' failed.\n"
	.size	__const.__assert_fail.fmt, 47

	.type	.str.4,@object                  ; @.str.4
	.section	.rodata.str1.1,"aMS",@progbits,1
.str.4:
	.asciz	"nev <= n"
	.size	.str.4, 9

	.type	.str.5,@object                  ; @.str.5
.str.5:
	.asciz	"/root/src/amdgpu-assembly/repos/ROCm__rocSOLVER/library/src/lapack/roclapack_syevx_heevx.hpp"
	.size	.str.5, 93

	.type	__PRETTY_FUNCTION__._ZN9rocsolver6v33100L15syevx_sort_eigsIffPfEEviPiPT0_lT1_iilS3_lS3_S3_,@object ; @__PRETTY_FUNCTION__._ZN9rocsolver6v33100L15syevx_sort_eigsIffPfEEviPiPT0_lT1_iilS3_lS3_S3_
__PRETTY_FUNCTION__._ZN9rocsolver6v33100L15syevx_sort_eigsIffPfEEviPiPT0_lT1_iilS3_lS3_S3_:
	.asciz	"void rocsolver::syevx_sort_eigs(const rocblas_int, rocblas_int *, S *, const rocblas_stride, U, const rocblas_int, const rocblas_int, const rocblas_stride, rocblas_int *, const rocblas_stride, rocblas_int *, rocblas_int *) [T = float, S = float, U = float *]"
	.size	__PRETTY_FUNCTION__._ZN9rocsolver6v33100L15syevx_sort_eigsIffPfEEviPiPT0_lT1_iilS3_lS3_S3_, 259

	.type	.str.6,@object                  ; @.str.6
.str.6:
	.asciz	"isplit_map != nullptr"
	.size	.str.6, 22

	.type	__const._ZN9rocsolver6v33100L20shell_sort_ascendingIfiEEvT0_PT_PS2_.gaps,@object ; @__const._ZN9rocsolver6v33100L20shell_sort_ascendingIfiEEvT0_PT_PS2_.gaps
	.section	.rodata.cst32,"aM",@progbits,32
	.p2align	4, 0x0
__const._ZN9rocsolver6v33100L20shell_sort_ascendingIfiEEvT0_PT_PS2_.gaps:
	.long	701                             ; 0x2bd
	.long	301                             ; 0x12d
	;; [unrolled: 1-line block ×3, first 2 shown]
	.long	57                              ; 0x39
	.long	23                              ; 0x17
	;; [unrolled: 1-line block ×3, first 2 shown]
	.long	4                               ; 0x4
	.long	1                               ; 0x1
	.size	__const._ZN9rocsolver6v33100L20shell_sort_ascendingIfiEEvT0_PT_PS2_.gaps, 32

	.type	.str.7,@object                  ; @.str.7
	.section	.rodata.str1.1,"aMS",@progbits,1
.str.7:
	.asciz	"std::isnan(a[k]) || std::isnan(a[k + 1]) || a[k] <= a[k + 1]"
	.size	.str.7, 61

	.type	.str.8,@object                  ; @.str.8
.str.8:
	.asciz	"/root/src/amdgpu-assembly/repos/ROCm__rocSOLVER/library/src/include/lib_device_helpers.hpp"
	.size	.str.8, 91

	.type	__PRETTY_FUNCTION__._ZN9rocsolver6v33100L20shell_sort_ascendingIfiEEvT0_PT_PS2_,@object ; @__PRETTY_FUNCTION__._ZN9rocsolver6v33100L20shell_sort_ascendingIfiEEvT0_PT_PS2_
__PRETTY_FUNCTION__._ZN9rocsolver6v33100L20shell_sort_ascendingIfiEEvT0_PT_PS2_:
	.asciz	"void rocsolver::shell_sort_ascending(const I, S *, I *) [S = float, I = int]"
	.size	__PRETTY_FUNCTION__._ZN9rocsolver6v33100L20shell_sort_ascendingIfiEEvT0_PT_PS2_, 77

	.type	.str.10,@object                 ; @.str.10
.str.10:
	.asciz	"map[k] == k"
	.size	.str.10, 12

	.type	__PRETTY_FUNCTION__._ZN9rocsolver6v33100L18syevx_permute_swapIfEEviiiPiPT_iS2_,@object ; @__PRETTY_FUNCTION__._ZN9rocsolver6v33100L18syevx_permute_swapIfEEviiiPiPT_iS2_
__PRETTY_FUNCTION__._ZN9rocsolver6v33100L18syevx_permute_swapIfEEviiiPiPT_iS2_:
	.asciz	"void rocsolver::syevx_permute_swap(rocblas_int, rocblas_int, rocblas_int, rocblas_int *, T *, rocblas_int, rocblas_int *) [T = float]"
	.size	__PRETTY_FUNCTION__._ZN9rocsolver6v33100L18syevx_permute_swapIfEEviiiPiPT_iS2_, 134

	.type	__PRETTY_FUNCTION__._ZN9rocsolver6v33100L15syevx_sort_eigsIddPdEEviPiPT0_lT1_iilS3_lS3_S3_,@object ; @__PRETTY_FUNCTION__._ZN9rocsolver6v33100L15syevx_sort_eigsIddPdEEviPiPT0_lT1_iilS3_lS3_S3_
__PRETTY_FUNCTION__._ZN9rocsolver6v33100L15syevx_sort_eigsIddPdEEviPiPT0_lT1_iilS3_lS3_S3_:
	.asciz	"void rocsolver::syevx_sort_eigs(const rocblas_int, rocblas_int *, S *, const rocblas_stride, U, const rocblas_int, const rocblas_int, const rocblas_stride, rocblas_int *, const rocblas_stride, rocblas_int *, rocblas_int *) [T = double, S = double, U = double *]"
	.size	__PRETTY_FUNCTION__._ZN9rocsolver6v33100L15syevx_sort_eigsIddPdEEviPiPT0_lT1_iilS3_lS3_S3_, 262

	.type	__const._ZN9rocsolver6v33100L20shell_sort_ascendingIdiEEvT0_PT_PS2_.gaps,@object ; @__const._ZN9rocsolver6v33100L20shell_sort_ascendingIdiEEvT0_PT_PS2_.gaps
	.section	.rodata.cst32,"aM",@progbits,32
	.p2align	4, 0x0
__const._ZN9rocsolver6v33100L20shell_sort_ascendingIdiEEvT0_PT_PS2_.gaps:
	.long	701                             ; 0x2bd
	.long	301                             ; 0x12d
	;; [unrolled: 1-line block ×3, first 2 shown]
	.long	57                              ; 0x39
	.long	23                              ; 0x17
	;; [unrolled: 1-line block ×3, first 2 shown]
	.long	4                               ; 0x4
	.long	1                               ; 0x1
	.size	__const._ZN9rocsolver6v33100L20shell_sort_ascendingIdiEEvT0_PT_PS2_.gaps, 32

	.type	__PRETTY_FUNCTION__._ZN9rocsolver6v33100L20shell_sort_ascendingIdiEEvT0_PT_PS2_,@object ; @__PRETTY_FUNCTION__._ZN9rocsolver6v33100L20shell_sort_ascendingIdiEEvT0_PT_PS2_
	.section	.rodata.str1.1,"aMS",@progbits,1
__PRETTY_FUNCTION__._ZN9rocsolver6v33100L20shell_sort_ascendingIdiEEvT0_PT_PS2_:
	.asciz	"void rocsolver::shell_sort_ascending(const I, S *, I *) [S = double, I = int]"
	.size	__PRETTY_FUNCTION__._ZN9rocsolver6v33100L20shell_sort_ascendingIdiEEvT0_PT_PS2_, 78

	.type	__PRETTY_FUNCTION__._ZN9rocsolver6v33100L18syevx_permute_swapIdEEviiiPiPT_iS2_,@object ; @__PRETTY_FUNCTION__._ZN9rocsolver6v33100L18syevx_permute_swapIdEEviiiPiPT_iS2_
__PRETTY_FUNCTION__._ZN9rocsolver6v33100L18syevx_permute_swapIdEEviiiPiPT_iS2_:
	.asciz	"void rocsolver::syevx_permute_swap(rocblas_int, rocblas_int, rocblas_int, rocblas_int *, T *, rocblas_int, rocblas_int *) [T = double]"
	.size	__PRETTY_FUNCTION__._ZN9rocsolver6v33100L18syevx_permute_swapIdEEviiiPiPT_iS2_, 135

	.type	__hip_cuid_f5c8466ae3504cda,@object ; @__hip_cuid_f5c8466ae3504cda
	.section	.bss,"aw",@nobits
	.globl	__hip_cuid_f5c8466ae3504cda
__hip_cuid_f5c8466ae3504cda:
	.byte	0                               ; 0x0
	.size	__hip_cuid_f5c8466ae3504cda, 1

	.ident	"AMD clang version 22.0.0git (https://github.com/RadeonOpenCompute/llvm-project roc-7.2.4 26084 f58b06dce1f9c15707c5f808fd002e18c2accf7e)"
	.section	".note.GNU-stack","",@progbits
	.addrsig
	.addrsig_sym __hip_cuid_f5c8466ae3504cda
	.amdgpu_metadata
---
amdhsa.kernels:
  - .args:
      - .address_space:  global
        .offset:         0
        .size:           8
        .value_kind:     global_buffer
      - .offset:         8
        .size:           4
        .value_kind:     by_value
      - .offset:         12
        .size:           4
        .value_kind:     by_value
      - .offset:         16
        .size:           4
        .value_kind:     by_value
      - .offset:         24
        .size:           4
        .value_kind:     hidden_block_count_x
      - .offset:         28
        .size:           4
        .value_kind:     hidden_block_count_y
      - .offset:         32
        .size:           4
        .value_kind:     hidden_block_count_z
      - .offset:         36
        .size:           2
        .value_kind:     hidden_group_size_x
      - .offset:         38
        .size:           2
        .value_kind:     hidden_group_size_y
      - .offset:         40
        .size:           2
        .value_kind:     hidden_group_size_z
      - .offset:         42
        .size:           2
        .value_kind:     hidden_remainder_x
      - .offset:         44
        .size:           2
        .value_kind:     hidden_remainder_y
      - .offset:         46
        .size:           2
        .value_kind:     hidden_remainder_z
      - .offset:         64
        .size:           8
        .value_kind:     hidden_global_offset_x
      - .offset:         72
        .size:           8
        .value_kind:     hidden_global_offset_y
      - .offset:         80
        .size:           8
        .value_kind:     hidden_global_offset_z
      - .offset:         88
        .size:           2
        .value_kind:     hidden_grid_dims
    .group_segment_fixed_size: 0
    .kernarg_segment_align: 8
    .kernarg_segment_size: 280
    .language:       OpenCL C
    .language_version:
      - 2
      - 0
    .max_flat_workgroup_size: 1024
    .name:           _ZN9rocsolver6v33100L10reset_infoIiiiEEvPT_T0_T1_S4_
    .private_segment_fixed_size: 0
    .sgpr_count:     12
    .sgpr_spill_count: 0
    .symbol:         _ZN9rocsolver6v33100L10reset_infoIiiiEEvPT_T0_T1_S4_.kd
    .uniform_work_group_size: 1
    .uses_dynamic_stack: false
    .vgpr_count:     4
    .vgpr_spill_count: 0
    .wavefront_size: 64
  - .args:
      - .address_space:  global
        .offset:         0
        .size:           8
        .value_kind:     global_buffer
      - .offset:         8
        .size:           4
        .value_kind:     by_value
      - .offset:         12
        .size:           4
        .value_kind:     by_value
      - .offset:         16
        .size:           4
        .value_kind:     by_value
      - .offset:         24
        .size:           4
        .value_kind:     hidden_block_count_x
      - .offset:         28
        .size:           4
        .value_kind:     hidden_block_count_y
      - .offset:         32
        .size:           4
        .value_kind:     hidden_block_count_z
      - .offset:         36
        .size:           2
        .value_kind:     hidden_group_size_x
      - .offset:         38
        .size:           2
        .value_kind:     hidden_group_size_y
      - .offset:         40
        .size:           2
        .value_kind:     hidden_group_size_z
      - .offset:         42
        .size:           2
        .value_kind:     hidden_remainder_x
      - .offset:         44
        .size:           2
        .value_kind:     hidden_remainder_y
      - .offset:         46
        .size:           2
        .value_kind:     hidden_remainder_z
      - .offset:         64
        .size:           8
        .value_kind:     hidden_global_offset_x
      - .offset:         72
        .size:           8
        .value_kind:     hidden_global_offset_y
      - .offset:         80
        .size:           8
        .value_kind:     hidden_global_offset_z
      - .offset:         88
        .size:           2
        .value_kind:     hidden_grid_dims
    .group_segment_fixed_size: 0
    .kernarg_segment_align: 8
    .kernarg_segment_size: 280
    .language:       OpenCL C
    .language_version:
      - 2
      - 0
    .max_flat_workgroup_size: 1024
    .name:           _ZN9rocsolver6v33100L10reset_infoIfiiEEvPT_T0_T1_S4_
    .private_segment_fixed_size: 0
    .sgpr_count:     12
    .sgpr_spill_count: 0
    .symbol:         _ZN9rocsolver6v33100L10reset_infoIfiiEEvPT_T0_T1_S4_.kd
    .uniform_work_group_size: 1
    .uses_dynamic_stack: false
    .vgpr_count:     5
    .vgpr_spill_count: 0
    .wavefront_size: 64
  - .args:
      - .offset:         0
        .size:           4
        .value_kind:     by_value
      - .offset:         4
        .size:           4
        .value_kind:     by_value
      - .address_space:  global
        .offset:         8
        .size:           8
        .value_kind:     global_buffer
      - .offset:         16
        .size:           4
        .value_kind:     by_value
      - .offset:         20
        .size:           4
        .value_kind:     by_value
      - .offset:         24
        .size:           8
        .value_kind:     by_value
      - .address_space:  global
        .offset:         32
        .size:           8
        .value_kind:     global_buffer
      - .offset:         40
        .size:           4
        .value_kind:     by_value
      - .offset:         44
        .size:           4
        .value_kind:     by_value
      - .offset:         48
        .size:           8
        .value_kind:     by_value
      - .offset:         56
        .size:           1
        .value_kind:     by_value
      - .offset:         60
        .size:           4
        .value_kind:     by_value
      - .offset:         64
        .size:           4
        .value_kind:     by_value
      - .offset:         72
        .size:           4
        .value_kind:     hidden_block_count_x
      - .offset:         76
        .size:           4
        .value_kind:     hidden_block_count_y
      - .offset:         80
        .size:           4
        .value_kind:     hidden_block_count_z
      - .offset:         84
        .size:           2
        .value_kind:     hidden_group_size_x
      - .offset:         86
        .size:           2
        .value_kind:     hidden_group_size_y
      - .offset:         88
        .size:           2
        .value_kind:     hidden_group_size_z
      - .offset:         90
        .size:           2
        .value_kind:     hidden_remainder_x
      - .offset:         92
        .size:           2
        .value_kind:     hidden_remainder_y
      - .offset:         94
        .size:           2
        .value_kind:     hidden_remainder_z
      - .offset:         112
        .size:           8
        .value_kind:     hidden_global_offset_x
      - .offset:         120
        .size:           8
        .value_kind:     hidden_global_offset_y
      - .offset:         128
        .size:           8
        .value_kind:     hidden_global_offset_z
      - .offset:         136
        .size:           2
        .value_kind:     hidden_grid_dims
    .group_segment_fixed_size: 0
    .kernarg_segment_align: 8
    .kernarg_segment_size: 328
    .language:       OpenCL C
    .language_version:
      - 2
      - 0
    .max_flat_workgroup_size: 1024
    .name:           _ZN9rocsolver6v33100L8copy_matIfPfS2_NS0_7no_maskEEEviiT0_iilT1_iilT2_13rocblas_fill_17rocblas_diagonal_
    .private_segment_fixed_size: 0
    .sgpr_count:     24
    .sgpr_spill_count: 0
    .symbol:         _ZN9rocsolver6v33100L8copy_matIfPfS2_NS0_7no_maskEEEviiT0_iilT1_iilT2_13rocblas_fill_17rocblas_diagonal_.kd
    .uniform_work_group_size: 1
    .uses_dynamic_stack: false
    .vgpr_count:     6
    .vgpr_spill_count: 0
    .wavefront_size: 64
  - .args:
      - .offset:         0
        .size:           4
        .value_kind:     by_value
      - .offset:         4
        .size:           4
        .value_kind:     by_value
      - .offset:         8
        .size:           4
        .value_kind:     by_value
      - .address_space:  global
        .offset:         16
        .size:           8
        .value_kind:     global_buffer
      - .offset:         24
        .size:           4
        .value_kind:     by_value
      - .offset:         32
        .size:           8
        .value_kind:     by_value
      - .address_space:  global
        .offset:         40
        .size:           8
        .value_kind:     global_buffer
      - .address_space:  global
        .offset:         48
        .size:           8
        .value_kind:     global_buffer
      - .address_space:  global
        .offset:         56
        .size:           8
        .value_kind:     global_buffer
      - .offset:         64
        .size:           8
        .value_kind:     by_value
      - .address_space:  global
        .offset:         72
        .size:           8
        .value_kind:     global_buffer
      - .offset:         80
        .size:           8
        .value_kind:     by_value
      - .address_space:  global
        .offset:         88
        .size:           8
        .value_kind:     global_buffer
      - .offset:         96
        .size:           8
        .value_kind:     by_value
      - .offset:         104
        .size:           4
        .value_kind:     by_value
      - .offset:         112
        .size:           4
        .value_kind:     hidden_block_count_x
      - .offset:         116
        .size:           4
        .value_kind:     hidden_block_count_y
      - .offset:         120
        .size:           4
        .value_kind:     hidden_block_count_z
      - .offset:         124
        .size:           2
        .value_kind:     hidden_group_size_x
      - .offset:         126
        .size:           2
        .value_kind:     hidden_group_size_y
      - .offset:         128
        .size:           2
        .value_kind:     hidden_group_size_z
      - .offset:         130
        .size:           2
        .value_kind:     hidden_remainder_x
      - .offset:         132
        .size:           2
        .value_kind:     hidden_remainder_y
      - .offset:         134
        .size:           2
        .value_kind:     hidden_remainder_z
      - .offset:         152
        .size:           8
        .value_kind:     hidden_global_offset_x
      - .offset:         160
        .size:           8
        .value_kind:     hidden_global_offset_y
      - .offset:         168
        .size:           8
        .value_kind:     hidden_global_offset_z
      - .offset:         176
        .size:           2
        .value_kind:     hidden_grid_dims
    .group_segment_fixed_size: 0
    .kernarg_segment_align: 8
    .kernarg_segment_size: 368
    .language:       OpenCL C
    .language_version:
      - 2
      - 0
    .max_flat_workgroup_size: 1024
    .name:           _ZN9rocsolver6v33100L18stebz_case1_kernelIfPfEEv15rocblas_erange_T_S4_T0_ilPiS6_PS4_lS6_lS6_li
    .private_segment_fixed_size: 0
    .sgpr_count:     28
    .sgpr_spill_count: 0
    .symbol:         _ZN9rocsolver6v33100L18stebz_case1_kernelIfPfEEv15rocblas_erange_T_S4_T0_ilPiS6_PS4_lS6_lS6_li.kd
    .uniform_work_group_size: 1
    .uses_dynamic_stack: false
    .vgpr_count:     10
    .vgpr_spill_count: 0
    .wavefront_size: 64
  - .args:
      - .offset:         0
        .size:           4
        .value_kind:     by_value
      - .offset:         4
        .size:           4
        .value_kind:     by_value
      - .offset:         8
        .size:           4
        .value_kind:     by_value
      - .offset:         12
        .size:           4
        .value_kind:     by_value
      - .offset:         16
        .size:           4
        .value_kind:     by_value
      - .offset:         20
        .size:           4
        .value_kind:     by_value
      - .address_space:  global
        .offset:         24
        .size:           8
        .value_kind:     global_buffer
      - .offset:         32
        .size:           4
        .value_kind:     by_value
      - .offset:         36
        .size:           4
        .value_kind:     by_value
      - .address_space:  global
        .offset:         40
        .size:           8
        .value_kind:     global_buffer
      - .offset:         48
        .size:           4
        .value_kind:     by_value
      - .offset:         52
        .size:           4
        .value_kind:     by_value
      - .address_space:  global
        .offset:         56
        .size:           8
        .value_kind:     global_buffer
      - .address_space:  global
        .offset:         64
        .size:           8
        .value_kind:     global_buffer
      - .offset:         72
        .size:           8
        .value_kind:     by_value
      - .address_space:  global
        .offset:         80
        .size:           8
        .value_kind:     global_buffer
      - .offset:         88
        .size:           8
        .value_kind:     by_value
      - .address_space:  global
        .offset:         96
        .size:           8
        .value_kind:     global_buffer
      - .address_space:  global
        .offset:         104
        .size:           8
        .value_kind:     global_buffer
      - .address_space:  global
        .offset:         112
        .size:           8
        .value_kind:     global_buffer
      - .address_space:  global
        .offset:         120
        .size:           8
        .value_kind:     global_buffer
      - .address_space:  global
        .offset:         128
        .size:           8
        .value_kind:     global_buffer
      - .address_space:  global
        .offset:         136
        .size:           8
        .value_kind:     global_buffer
      - .offset:         144
        .size:           4
        .value_kind:     by_value
      - .offset:         148
        .size:           4
        .value_kind:     by_value
    .group_segment_fixed_size: 2048
    .kernarg_segment_align: 8
    .kernarg_segment_size: 152
    .language:       OpenCL C
    .language_version:
      - 2
      - 0
    .max_flat_workgroup_size: 256
    .name:           _ZN9rocsolver6v33100L22stebz_splitting_kernelIfPfEEv15rocblas_erange_iT_S4_iiT0_iiS5_iiPiPS4_lS6_lS6_S7_S7_S7_S7_S6_S4_S4_
    .private_segment_fixed_size: 0
    .sgpr_count:     60
    .sgpr_spill_count: 0
    .symbol:         _ZN9rocsolver6v33100L22stebz_splitting_kernelIfPfEEv15rocblas_erange_iT_S4_iiT0_iiS5_iiPiPS4_lS6_lS6_S7_S7_S7_S7_S6_S4_S4_.kd
    .uniform_work_group_size: 1
    .uses_dynamic_stack: false
    .vgpr_count:     21
    .vgpr_spill_count: 0
    .wavefront_size: 64
  - .args:
      - .offset:         0
        .size:           4
        .value_kind:     by_value
      - .offset:         4
        .size:           4
        .value_kind:     by_value
      - .offset:         8
        .size:           4
        .value_kind:     by_value
      - .address_space:  global
        .offset:         16
        .size:           8
        .value_kind:     global_buffer
      - .offset:         24
        .size:           4
        .value_kind:     by_value
      - .offset:         28
        .size:           4
        .value_kind:     by_value
      - .address_space:  global
        .offset:         32
        .size:           8
        .value_kind:     global_buffer
      - .offset:         40
        .size:           4
        .value_kind:     by_value
      - .offset:         44
        .size:           4
        .value_kind:     by_value
      - .address_space:  global
        .offset:         48
        .size:           8
        .value_kind:     global_buffer
      - .address_space:  global
        .offset:         56
        .size:           8
        .value_kind:     global_buffer
      - .offset:         64
        .size:           8
        .value_kind:     by_value
      - .address_space:  global
        .offset:         72
        .size:           8
        .value_kind:     global_buffer
      - .offset:         80
        .size:           8
        .value_kind:     by_value
      - .address_space:  global
        .offset:         88
        .size:           8
        .value_kind:     global_buffer
      - .offset:         96
        .size:           8
        .value_kind:     by_value
      - .address_space:  global
        .offset:         104
        .size:           8
        .value_kind:     global_buffer
      - .address_space:  global
        .offset:         112
        .size:           8
        .value_kind:     global_buffer
      - .address_space:  global
        .offset:         120
        .size:           8
        .value_kind:     global_buffer
      - .address_space:  global
        .offset:         128
        .size:           8
        .value_kind:     global_buffer
      - .address_space:  global
        .offset:         136
        .size:           8
        .value_kind:     global_buffer
      - .address_space:  global
        .offset:         144
        .size:           8
        .value_kind:     global_buffer
      - .address_space:  global
        .offset:         152
        .size:           8
        .value_kind:     global_buffer
      - .offset:         160
        .size:           4
        .value_kind:     by_value
      - .offset:         164
        .size:           4
        .value_kind:     by_value
    .group_segment_fixed_size: 4616
    .kernarg_segment_align: 8
    .kernarg_segment_size: 168
    .language:       OpenCL C
    .language_version:
      - 2
      - 0
    .max_flat_workgroup_size: 128
    .name:           _ZN9rocsolver6v33100L22stebz_bisection_kernelIfPfEEv15rocblas_erange_iT_T0_iiS5_iiPiPS4_lS6_lS6_lS6_S6_S7_S7_S7_S7_S6_S4_S4_
    .private_segment_fixed_size: 0
    .sgpr_count:     88
    .sgpr_spill_count: 0
    .symbol:         _ZN9rocsolver6v33100L22stebz_bisection_kernelIfPfEEv15rocblas_erange_iT_T0_iiS5_iiPiPS4_lS6_lS6_lS6_S6_S7_S7_S7_S7_S6_S4_S4_.kd
    .uniform_work_group_size: 1
    .uses_dynamic_stack: false
    .vgpr_count:     26
    .vgpr_spill_count: 0
    .wavefront_size: 64
  - .args:
      - .offset:         0
        .size:           4
        .value_kind:     by_value
      - .offset:         4
        .size:           4
        .value_kind:     by_value
      - .offset:         8
        .size:           4
        .value_kind:     by_value
      - .offset:         12
        .size:           4
        .value_kind:     by_value
      - .offset:         16
        .size:           4
        .value_kind:     by_value
      - .address_space:  global
        .offset:         24
        .size:           8
        .value_kind:     global_buffer
      - .offset:         32
        .size:           4
        .value_kind:     by_value
      - .offset:         36
        .size:           4
        .value_kind:     by_value
      - .address_space:  global
        .offset:         40
        .size:           8
        .value_kind:     global_buffer
      - .address_space:  global
        .offset:         48
        .size:           8
        .value_kind:     global_buffer
      - .address_space:  global
        .offset:         56
        .size:           8
        .value_kind:     global_buffer
      - .offset:         64
        .size:           8
        .value_kind:     by_value
      - .address_space:  global
        .offset:         72
        .size:           8
        .value_kind:     global_buffer
      - .offset:         80
        .size:           8
        .value_kind:     by_value
      - .address_space:  global
        .offset:         88
        .size:           8
        .value_kind:     global_buffer
      - .offset:         96
        .size:           8
        .value_kind:     by_value
      - .offset:         104
        .size:           4
        .value_kind:     by_value
      - .address_space:  global
        .offset:         112
        .size:           8
        .value_kind:     global_buffer
      - .address_space:  global
        .offset:         120
        .size:           8
        .value_kind:     global_buffer
      - .address_space:  global
        .offset:         128
        .size:           8
        .value_kind:     global_buffer
      - .address_space:  global
        .offset:         136
        .size:           8
        .value_kind:     global_buffer
      - .address_space:  global
        .offset:         144
        .size:           8
        .value_kind:     global_buffer
      - .address_space:  global
        .offset:         152
        .size:           8
        .value_kind:     global_buffer
      - .offset:         160
        .size:           4
        .value_kind:     by_value
      - .offset:         168
        .size:           4
        .value_kind:     hidden_block_count_x
      - .offset:         172
        .size:           4
        .value_kind:     hidden_block_count_y
      - .offset:         176
        .size:           4
        .value_kind:     hidden_block_count_z
      - .offset:         180
        .size:           2
        .value_kind:     hidden_group_size_x
      - .offset:         182
        .size:           2
        .value_kind:     hidden_group_size_y
      - .offset:         184
        .size:           2
        .value_kind:     hidden_group_size_z
      - .offset:         186
        .size:           2
        .value_kind:     hidden_remainder_x
      - .offset:         188
        .size:           2
        .value_kind:     hidden_remainder_y
      - .offset:         190
        .size:           2
        .value_kind:     hidden_remainder_z
      - .offset:         208
        .size:           8
        .value_kind:     hidden_global_offset_x
      - .offset:         216
        .size:           8
        .value_kind:     hidden_global_offset_y
      - .offset:         224
        .size:           8
        .value_kind:     hidden_global_offset_z
      - .offset:         232
        .size:           2
        .value_kind:     hidden_grid_dims
    .group_segment_fixed_size: 0
    .kernarg_segment_align: 8
    .kernarg_segment_size: 424
    .language:       OpenCL C
    .language_version:
      - 2
      - 0
    .max_flat_workgroup_size: 1024
    .name:           _ZN9rocsolver6v33100L22stebz_synthesis_kernelIfPfEEv15rocblas_erange_15rocblas_eorder_iiiT0_iiPiS6_PT_lS6_lS6_liS6_S8_S8_S8_S8_S6_S7_
    .private_segment_fixed_size: 0
    .sgpr_count:     44
    .sgpr_spill_count: 0
    .symbol:         _ZN9rocsolver6v33100L22stebz_synthesis_kernelIfPfEEv15rocblas_erange_15rocblas_eorder_iiiT0_iiPiS6_PT_lS6_lS6_liS6_S8_S8_S8_S8_S6_S7_.kd
    .uniform_work_group_size: 1
    .uses_dynamic_stack: false
    .vgpr_count:     42
    .vgpr_spill_count: 0
    .wavefront_size: 64
  - .args:
      - .offset:         0
        .size:           4
        .value_kind:     by_value
      - .address_space:  global
        .offset:         8
        .size:           8
        .value_kind:     global_buffer
      - .address_space:  global
        .offset:         16
        .size:           8
        .value_kind:     global_buffer
      - .offset:         24
        .size:           8
        .value_kind:     by_value
      - .address_space:  global
        .offset:         32
        .size:           8
        .value_kind:     global_buffer
      - .offset:         40
        .size:           4
        .value_kind:     hidden_block_count_x
      - .offset:         44
        .size:           4
        .value_kind:     hidden_block_count_y
      - .offset:         48
        .size:           4
        .value_kind:     hidden_block_count_z
      - .offset:         52
        .size:           2
        .value_kind:     hidden_group_size_x
      - .offset:         54
        .size:           2
        .value_kind:     hidden_group_size_y
      - .offset:         56
        .size:           2
        .value_kind:     hidden_group_size_z
      - .offset:         58
        .size:           2
        .value_kind:     hidden_remainder_x
      - .offset:         60
        .size:           2
        .value_kind:     hidden_remainder_y
      - .offset:         62
        .size:           2
        .value_kind:     hidden_remainder_z
      - .offset:         80
        .size:           8
        .value_kind:     hidden_global_offset_x
      - .offset:         88
        .size:           8
        .value_kind:     hidden_global_offset_y
      - .offset:         96
        .size:           8
        .value_kind:     hidden_global_offset_z
      - .offset:         104
        .size:           2
        .value_kind:     hidden_grid_dims
    .group_segment_fixed_size: 0
    .kernarg_segment_align: 8
    .kernarg_segment_size: 296
    .language:       OpenCL C
    .language_version:
      - 2
      - 0
    .max_flat_workgroup_size: 1024
    .name:           _ZN9rocsolver6v33100L15bdsvdx_abs_eigsIfEEviPiPT_lS4_
    .private_segment_fixed_size: 0
    .sgpr_count:     20
    .sgpr_spill_count: 0
    .symbol:         _ZN9rocsolver6v33100L15bdsvdx_abs_eigsIfEEviPiPT_lS4_.kd
    .uniform_work_group_size: 1
    .uses_dynamic_stack: false
    .vgpr_count:     4
    .vgpr_spill_count: 0
    .wavefront_size: 64
  - .args:
      - .offset:         0
        .size:           4
        .value_kind:     by_value
      - .address_space:  global
        .offset:         8
        .size:           8
        .value_kind:     global_buffer
      - .offset:         16
        .size:           8
        .value_kind:     by_value
      - .address_space:  global
        .offset:         24
        .size:           8
        .value_kind:     global_buffer
      - .offset:         32
        .size:           8
        .value_kind:     by_value
      - .address_space:  global
        .offset:         40
        .size:           8
        .value_kind:     global_buffer
      - .address_space:  global
        .offset:         48
        .size:           8
        .value_kind:     global_buffer
      - .offset:         56
        .size:           8
        .value_kind:     by_value
      - .address_space:  global
        .offset:         64
        .size:           8
        .value_kind:     global_buffer
      - .offset:         72
        .size:           8
        .value_kind:     by_value
      - .address_space:  global
        .offset:         80
        .size:           8
        .value_kind:     global_buffer
      - .offset:         88
        .size:           8
        .value_kind:     by_value
      - .address_space:  global
        .offset:         96
        .size:           8
        .value_kind:     global_buffer
      - .offset:         104
        .size:           4
        .value_kind:     by_value
      - .offset:         108
        .size:           4
        .value_kind:     by_value
      - .offset:         112
        .size:           8
        .value_kind:     by_value
      - .address_space:  global
        .offset:         120
        .size:           8
        .value_kind:     global_buffer
      - .offset:         128
        .size:           8
        .value_kind:     by_value
      - .address_space:  global
        .offset:         136
        .size:           8
        .value_kind:     global_buffer
      - .address_space:  global
        .offset:         144
        .size:           8
        .value_kind:     global_buffer
      - .address_space:  global
        .offset:         152
        .size:           8
        .value_kind:     global_buffer
      - .offset:         160
        .size:           4
        .value_kind:     by_value
      - .offset:         164
        .size:           4
        .value_kind:     by_value
    .group_segment_fixed_size: 8
    .kernarg_segment_align: 8
    .kernarg_segment_size: 168
    .language:       OpenCL C
    .language_version:
      - 2
      - 0
    .max_flat_workgroup_size: 256
    .name:           _ZN9rocsolver6v33100L12stein_kernelIffPfEEviPT0_lS4_lPiS4_lS5_lS5_lT1_iilS5_lS5_S4_S5_S3_S3_
    .private_segment_fixed_size: 0
    .sgpr_count:     100
    .sgpr_spill_count: 28
    .symbol:         _ZN9rocsolver6v33100L12stein_kernelIffPfEEviPT0_lS4_lPiS4_lS5_lS5_lT1_iilS5_lS5_S4_S5_S3_S3_.kd
    .uniform_work_group_size: 1
    .uses_dynamic_stack: false
    .vgpr_count:     42
    .vgpr_spill_count: 0
    .wavefront_size: 64
  - .args:
      - .offset:         0
        .size:           4
        .value_kind:     by_value
      - .address_space:  global
        .offset:         8
        .size:           8
        .value_kind:     global_buffer
      - .address_space:  global
        .offset:         16
        .size:           8
        .value_kind:     global_buffer
      - .offset:         24
        .size:           8
        .value_kind:     by_value
      - .address_space:  global
        .offset:         32
        .size:           8
        .value_kind:     global_buffer
      - .offset:         40
        .size:           4
        .value_kind:     by_value
      - .offset:         44
        .size:           4
        .value_kind:     by_value
      - .offset:         48
        .size:           8
        .value_kind:     by_value
      - .address_space:  global
        .offset:         56
        .size:           8
        .value_kind:     global_buffer
      - .offset:         64
        .size:           8
        .value_kind:     by_value
      - .address_space:  global
        .offset:         72
        .size:           8
        .value_kind:     global_buffer
      - .address_space:  global
        .offset:         80
        .size:           8
        .value_kind:     global_buffer
      - .offset:         88
        .size:           4
        .value_kind:     hidden_block_count_x
      - .offset:         92
        .size:           4
        .value_kind:     hidden_block_count_y
      - .offset:         96
        .size:           4
        .value_kind:     hidden_block_count_z
      - .offset:         100
        .size:           2
        .value_kind:     hidden_group_size_x
      - .offset:         102
        .size:           2
        .value_kind:     hidden_group_size_y
      - .offset:         104
        .size:           2
        .value_kind:     hidden_group_size_z
      - .offset:         106
        .size:           2
        .value_kind:     hidden_remainder_x
      - .offset:         108
        .size:           2
        .value_kind:     hidden_remainder_y
      - .offset:         110
        .size:           2
        .value_kind:     hidden_remainder_z
      - .offset:         128
        .size:           8
        .value_kind:     hidden_global_offset_x
      - .offset:         136
        .size:           8
        .value_kind:     hidden_global_offset_y
      - .offset:         144
        .size:           8
        .value_kind:     hidden_global_offset_z
      - .offset:         152
        .size:           2
        .value_kind:     hidden_grid_dims
      - .offset:         168
        .size:           8
        .value_kind:     hidden_hostcall_buffer
    .group_segment_fixed_size: 0
    .kernarg_segment_align: 8
    .kernarg_segment_size: 344
    .language:       OpenCL C
    .language_version:
      - 2
      - 0
    .max_flat_workgroup_size: 256
    .name:           _ZN9rocsolver6v33100L15syevx_sort_eigsIffPfEEviPiPT0_lT1_iilS3_lS3_S3_
    .private_segment_fixed_size: 64
    .sgpr_count:     61
    .sgpr_spill_count: 0
    .symbol:         _ZN9rocsolver6v33100L15syevx_sort_eigsIffPfEEviPiPT0_lT1_iilS3_lS3_S3_.kd
    .uniform_work_group_size: 1
    .uses_dynamic_stack: false
    .vgpr_count:     53
    .vgpr_spill_count: 0
    .wavefront_size: 64
  - .args:
      - .offset:         0
        .size:           4
        .value_kind:     by_value
      - .offset:         4
        .size:           4
        .value_kind:     by_value
      - .address_space:  global
        .offset:         8
        .size:           8
        .value_kind:     global_buffer
      - .address_space:  global
        .offset:         16
        .size:           8
        .value_kind:     global_buffer
      - .offset:         24
        .size:           8
        .value_kind:     by_value
      - .address_space:  global
        .offset:         32
        .size:           8
        .value_kind:     global_buffer
      - .offset:         40
        .size:           4
        .value_kind:     by_value
      - .offset:         44
        .size:           4
        .value_kind:     by_value
      - .offset:         48
        .size:           8
        .value_kind:     by_value
      - .address_space:  global
        .offset:         56
        .size:           8
        .value_kind:     global_buffer
      - .offset:         64
        .size:           4
        .value_kind:     hidden_block_count_x
      - .offset:         68
        .size:           4
        .value_kind:     hidden_block_count_y
      - .offset:         72
        .size:           4
        .value_kind:     hidden_block_count_z
      - .offset:         76
        .size:           2
        .value_kind:     hidden_group_size_x
      - .offset:         78
        .size:           2
        .value_kind:     hidden_group_size_y
      - .offset:         80
        .size:           2
        .value_kind:     hidden_group_size_z
      - .offset:         82
        .size:           2
        .value_kind:     hidden_remainder_x
      - .offset:         84
        .size:           2
        .value_kind:     hidden_remainder_y
      - .offset:         86
        .size:           2
        .value_kind:     hidden_remainder_z
      - .offset:         104
        .size:           8
        .value_kind:     hidden_global_offset_x
      - .offset:         112
        .size:           8
        .value_kind:     hidden_global_offset_y
      - .offset:         120
        .size:           8
        .value_kind:     hidden_global_offset_z
      - .offset:         128
        .size:           2
        .value_kind:     hidden_grid_dims
    .group_segment_fixed_size: 0
    .kernarg_segment_align: 8
    .kernarg_segment_size: 320
    .language:       OpenCL C
    .language_version:
      - 2
      - 0
    .max_flat_workgroup_size: 1024
    .name:           _ZN9rocsolver6v33100L19bdsvdx_reorder_vectIfPfEEv13rocblas_fill_iPiPT_lT0_iilS6_
    .private_segment_fixed_size: 0
    .sgpr_count:     30
    .sgpr_spill_count: 0
    .symbol:         _ZN9rocsolver6v33100L19bdsvdx_reorder_vectIfPfEEv13rocblas_fill_iPiPT_lT0_iilS6_.kd
    .uniform_work_group_size: 1
    .uses_dynamic_stack: false
    .vgpr_count:     10
    .vgpr_spill_count: 0
    .wavefront_size: 64
  - .args:
      - .address_space:  global
        .offset:         0
        .size:           8
        .value_kind:     global_buffer
      - .offset:         8
        .size:           4
        .value_kind:     by_value
      - .offset:         12
        .size:           4
        .value_kind:     by_value
      - .offset:         16
        .size:           4
        .value_kind:     by_value
      - .offset:         24
        .size:           4
        .value_kind:     hidden_block_count_x
      - .offset:         28
        .size:           4
        .value_kind:     hidden_block_count_y
      - .offset:         32
        .size:           4
        .value_kind:     hidden_block_count_z
      - .offset:         36
        .size:           2
        .value_kind:     hidden_group_size_x
      - .offset:         38
        .size:           2
        .value_kind:     hidden_group_size_y
      - .offset:         40
        .size:           2
        .value_kind:     hidden_group_size_z
      - .offset:         42
        .size:           2
        .value_kind:     hidden_remainder_x
      - .offset:         44
        .size:           2
        .value_kind:     hidden_remainder_y
      - .offset:         46
        .size:           2
        .value_kind:     hidden_remainder_z
      - .offset:         64
        .size:           8
        .value_kind:     hidden_global_offset_x
      - .offset:         72
        .size:           8
        .value_kind:     hidden_global_offset_y
      - .offset:         80
        .size:           8
        .value_kind:     hidden_global_offset_z
      - .offset:         88
        .size:           2
        .value_kind:     hidden_grid_dims
    .group_segment_fixed_size: 0
    .kernarg_segment_align: 8
    .kernarg_segment_size: 280
    .language:       OpenCL C
    .language_version:
      - 2
      - 0
    .max_flat_workgroup_size: 1024
    .name:           _ZN9rocsolver6v33100L10reset_infoIdiiEEvPT_T0_T1_S4_
    .private_segment_fixed_size: 0
    .sgpr_count:     12
    .sgpr_spill_count: 0
    .symbol:         _ZN9rocsolver6v33100L10reset_infoIdiiEEvPT_T0_T1_S4_.kd
    .uniform_work_group_size: 1
    .uses_dynamic_stack: false
    .vgpr_count:     5
    .vgpr_spill_count: 0
    .wavefront_size: 64
  - .args:
      - .offset:         0
        .size:           4
        .value_kind:     by_value
      - .offset:         4
        .size:           4
        .value_kind:     by_value
      - .address_space:  global
        .offset:         8
        .size:           8
        .value_kind:     global_buffer
      - .offset:         16
        .size:           4
        .value_kind:     by_value
      - .offset:         20
        .size:           4
        .value_kind:     by_value
      - .offset:         24
        .size:           8
        .value_kind:     by_value
      - .address_space:  global
        .offset:         32
        .size:           8
        .value_kind:     global_buffer
      - .offset:         40
        .size:           4
        .value_kind:     by_value
      - .offset:         44
        .size:           4
        .value_kind:     by_value
      - .offset:         48
        .size:           8
        .value_kind:     by_value
      - .offset:         56
        .size:           1
        .value_kind:     by_value
      - .offset:         60
        .size:           4
        .value_kind:     by_value
      - .offset:         64
        .size:           4
        .value_kind:     by_value
      - .offset:         72
        .size:           4
        .value_kind:     hidden_block_count_x
      - .offset:         76
        .size:           4
        .value_kind:     hidden_block_count_y
      - .offset:         80
        .size:           4
        .value_kind:     hidden_block_count_z
      - .offset:         84
        .size:           2
        .value_kind:     hidden_group_size_x
      - .offset:         86
        .size:           2
        .value_kind:     hidden_group_size_y
      - .offset:         88
        .size:           2
        .value_kind:     hidden_group_size_z
      - .offset:         90
        .size:           2
        .value_kind:     hidden_remainder_x
      - .offset:         92
        .size:           2
        .value_kind:     hidden_remainder_y
      - .offset:         94
        .size:           2
        .value_kind:     hidden_remainder_z
      - .offset:         112
        .size:           8
        .value_kind:     hidden_global_offset_x
      - .offset:         120
        .size:           8
        .value_kind:     hidden_global_offset_y
      - .offset:         128
        .size:           8
        .value_kind:     hidden_global_offset_z
      - .offset:         136
        .size:           2
        .value_kind:     hidden_grid_dims
    .group_segment_fixed_size: 0
    .kernarg_segment_align: 8
    .kernarg_segment_size: 328
    .language:       OpenCL C
    .language_version:
      - 2
      - 0
    .max_flat_workgroup_size: 1024
    .name:           _ZN9rocsolver6v33100L8copy_matIdPdS2_NS0_7no_maskEEEviiT0_iilT1_iilT2_13rocblas_fill_17rocblas_diagonal_
    .private_segment_fixed_size: 0
    .sgpr_count:     24
    .sgpr_spill_count: 0
    .symbol:         _ZN9rocsolver6v33100L8copy_matIdPdS2_NS0_7no_maskEEEviiT0_iilT1_iilT2_13rocblas_fill_17rocblas_diagonal_.kd
    .uniform_work_group_size: 1
    .uses_dynamic_stack: false
    .vgpr_count:     6
    .vgpr_spill_count: 0
    .wavefront_size: 64
  - .args:
      - .offset:         0
        .size:           4
        .value_kind:     by_value
      - .offset:         8
        .size:           8
        .value_kind:     by_value
      - .offset:         16
        .size:           8
        .value_kind:     by_value
      - .address_space:  global
        .offset:         24
        .size:           8
        .value_kind:     global_buffer
      - .offset:         32
        .size:           4
        .value_kind:     by_value
      - .offset:         40
        .size:           8
        .value_kind:     by_value
      - .address_space:  global
        .offset:         48
        .size:           8
        .value_kind:     global_buffer
      - .address_space:  global
        .offset:         56
        .size:           8
        .value_kind:     global_buffer
      - .address_space:  global
        .offset:         64
        .size:           8
        .value_kind:     global_buffer
      - .offset:         72
        .size:           8
        .value_kind:     by_value
      - .address_space:  global
        .offset:         80
        .size:           8
        .value_kind:     global_buffer
      - .offset:         88
        .size:           8
        .value_kind:     by_value
      - .address_space:  global
        .offset:         96
        .size:           8
        .value_kind:     global_buffer
      - .offset:         104
        .size:           8
        .value_kind:     by_value
      - .offset:         112
        .size:           4
        .value_kind:     by_value
      - .offset:         120
        .size:           4
        .value_kind:     hidden_block_count_x
      - .offset:         124
        .size:           4
        .value_kind:     hidden_block_count_y
      - .offset:         128
        .size:           4
        .value_kind:     hidden_block_count_z
      - .offset:         132
        .size:           2
        .value_kind:     hidden_group_size_x
      - .offset:         134
        .size:           2
        .value_kind:     hidden_group_size_y
      - .offset:         136
        .size:           2
        .value_kind:     hidden_group_size_z
      - .offset:         138
        .size:           2
        .value_kind:     hidden_remainder_x
      - .offset:         140
        .size:           2
        .value_kind:     hidden_remainder_y
      - .offset:         142
        .size:           2
        .value_kind:     hidden_remainder_z
      - .offset:         160
        .size:           8
        .value_kind:     hidden_global_offset_x
      - .offset:         168
        .size:           8
        .value_kind:     hidden_global_offset_y
      - .offset:         176
        .size:           8
        .value_kind:     hidden_global_offset_z
      - .offset:         184
        .size:           2
        .value_kind:     hidden_grid_dims
    .group_segment_fixed_size: 0
    .kernarg_segment_align: 8
    .kernarg_segment_size: 376
    .language:       OpenCL C
    .language_version:
      - 2
      - 0
    .max_flat_workgroup_size: 1024
    .name:           _ZN9rocsolver6v33100L18stebz_case1_kernelIdPdEEv15rocblas_erange_T_S4_T0_ilPiS6_PS4_lS6_lS6_li
    .private_segment_fixed_size: 0
    .sgpr_count:     28
    .sgpr_spill_count: 0
    .symbol:         _ZN9rocsolver6v33100L18stebz_case1_kernelIdPdEEv15rocblas_erange_T_S4_T0_ilPiS6_PS4_lS6_lS6_li.kd
    .uniform_work_group_size: 1
    .uses_dynamic_stack: false
    .vgpr_count:     11
    .vgpr_spill_count: 0
    .wavefront_size: 64
  - .args:
      - .offset:         0
        .size:           4
        .value_kind:     by_value
      - .offset:         4
        .size:           4
        .value_kind:     by_value
      - .offset:         8
        .size:           8
        .value_kind:     by_value
      - .offset:         16
        .size:           8
        .value_kind:     by_value
      - .offset:         24
        .size:           4
        .value_kind:     by_value
      - .offset:         28
        .size:           4
        .value_kind:     by_value
      - .address_space:  global
        .offset:         32
        .size:           8
        .value_kind:     global_buffer
      - .offset:         40
        .size:           4
        .value_kind:     by_value
      - .offset:         44
        .size:           4
        .value_kind:     by_value
      - .address_space:  global
        .offset:         48
        .size:           8
        .value_kind:     global_buffer
      - .offset:         56
        .size:           4
        .value_kind:     by_value
      - .offset:         60
        .size:           4
        .value_kind:     by_value
      - .address_space:  global
        .offset:         64
        .size:           8
        .value_kind:     global_buffer
      - .address_space:  global
        .offset:         72
        .size:           8
        .value_kind:     global_buffer
      - .offset:         80
        .size:           8
        .value_kind:     by_value
      - .address_space:  global
        .offset:         88
        .size:           8
        .value_kind:     global_buffer
      - .offset:         96
        .size:           8
        .value_kind:     by_value
      - .address_space:  global
        .offset:         104
        .size:           8
        .value_kind:     global_buffer
      - .address_space:  global
        .offset:         112
        .size:           8
        .value_kind:     global_buffer
      - .address_space:  global
        .offset:         120
        .size:           8
        .value_kind:     global_buffer
      - .address_space:  global
        .offset:         128
        .size:           8
        .value_kind:     global_buffer
      - .address_space:  global
        .offset:         136
        .size:           8
        .value_kind:     global_buffer
      - .address_space:  global
        .offset:         144
        .size:           8
        .value_kind:     global_buffer
      - .offset:         152
        .size:           8
        .value_kind:     by_value
      - .offset:         160
        .size:           8
        .value_kind:     by_value
    .group_segment_fixed_size: 3072
    .kernarg_segment_align: 8
    .kernarg_segment_size: 168
    .language:       OpenCL C
    .language_version:
      - 2
      - 0
    .max_flat_workgroup_size: 256
    .name:           _ZN9rocsolver6v33100L22stebz_splitting_kernelIdPdEEv15rocblas_erange_iT_S4_iiT0_iiS5_iiPiPS4_lS6_lS6_S7_S7_S7_S7_S6_S4_S4_
    .private_segment_fixed_size: 0
    .sgpr_count:     62
    .sgpr_spill_count: 0
    .symbol:         _ZN9rocsolver6v33100L22stebz_splitting_kernelIdPdEEv15rocblas_erange_iT_S4_iiT0_iiS5_iiPiPS4_lS6_lS6_S7_S7_S7_S7_S6_S4_S4_.kd
    .uniform_work_group_size: 1
    .uses_dynamic_stack: false
    .vgpr_count:     30
    .vgpr_spill_count: 0
    .wavefront_size: 64
  - .args:
      - .offset:         0
        .size:           4
        .value_kind:     by_value
      - .offset:         4
        .size:           4
        .value_kind:     by_value
      - .offset:         8
        .size:           8
        .value_kind:     by_value
      - .address_space:  global
        .offset:         16
        .size:           8
        .value_kind:     global_buffer
      - .offset:         24
        .size:           4
        .value_kind:     by_value
      - .offset:         28
        .size:           4
        .value_kind:     by_value
      - .address_space:  global
        .offset:         32
        .size:           8
        .value_kind:     global_buffer
      - .offset:         40
        .size:           4
        .value_kind:     by_value
      - .offset:         44
        .size:           4
        .value_kind:     by_value
      - .address_space:  global
        .offset:         48
        .size:           8
        .value_kind:     global_buffer
      - .address_space:  global
        .offset:         56
        .size:           8
        .value_kind:     global_buffer
      - .offset:         64
        .size:           8
        .value_kind:     by_value
      - .address_space:  global
        .offset:         72
        .size:           8
        .value_kind:     global_buffer
      - .offset:         80
        .size:           8
        .value_kind:     by_value
      - .address_space:  global
        .offset:         88
        .size:           8
        .value_kind:     global_buffer
      - .offset:         96
        .size:           8
        .value_kind:     by_value
      - .address_space:  global
        .offset:         104
        .size:           8
        .value_kind:     global_buffer
      - .address_space:  global
        .offset:         112
        .size:           8
        .value_kind:     global_buffer
      - .address_space:  global
        .offset:         120
        .size:           8
        .value_kind:     global_buffer
      - .address_space:  global
        .offset:         128
        .size:           8
        .value_kind:     global_buffer
      - .address_space:  global
        .offset:         136
        .size:           8
        .value_kind:     global_buffer
      - .address_space:  global
        .offset:         144
        .size:           8
        .value_kind:     global_buffer
      - .address_space:  global
        .offset:         152
        .size:           8
        .value_kind:     global_buffer
      - .offset:         160
        .size:           8
        .value_kind:     by_value
      - .offset:         168
        .size:           8
        .value_kind:     by_value
    .group_segment_fixed_size: 6664
    .kernarg_segment_align: 8
    .kernarg_segment_size: 176
    .language:       OpenCL C
    .language_version:
      - 2
      - 0
    .max_flat_workgroup_size: 128
    .name:           _ZN9rocsolver6v33100L22stebz_bisection_kernelIdPdEEv15rocblas_erange_iT_T0_iiS5_iiPiPS4_lS6_lS6_lS6_S6_S7_S7_S7_S7_S6_S4_S4_
    .private_segment_fixed_size: 0
    .sgpr_count:     100
    .sgpr_spill_count: 0
    .symbol:         _ZN9rocsolver6v33100L22stebz_bisection_kernelIdPdEEv15rocblas_erange_iT_T0_iiS5_iiPiPS4_lS6_lS6_lS6_S6_S7_S7_S7_S7_S6_S4_S4_.kd
    .uniform_work_group_size: 1
    .uses_dynamic_stack: false
    .vgpr_count:     43
    .vgpr_spill_count: 0
    .wavefront_size: 64
  - .args:
      - .offset:         0
        .size:           4
        .value_kind:     by_value
      - .offset:         4
        .size:           4
        .value_kind:     by_value
      - .offset:         8
        .size:           4
        .value_kind:     by_value
      - .offset:         12
        .size:           4
        .value_kind:     by_value
      - .offset:         16
        .size:           4
        .value_kind:     by_value
      - .address_space:  global
        .offset:         24
        .size:           8
        .value_kind:     global_buffer
      - .offset:         32
        .size:           4
        .value_kind:     by_value
      - .offset:         36
        .size:           4
        .value_kind:     by_value
      - .address_space:  global
        .offset:         40
        .size:           8
        .value_kind:     global_buffer
      - .address_space:  global
        .offset:         48
        .size:           8
        .value_kind:     global_buffer
      - .address_space:  global
        .offset:         56
        .size:           8
        .value_kind:     global_buffer
      - .offset:         64
        .size:           8
        .value_kind:     by_value
      - .address_space:  global
        .offset:         72
        .size:           8
        .value_kind:     global_buffer
      - .offset:         80
        .size:           8
        .value_kind:     by_value
      - .address_space:  global
        .offset:         88
        .size:           8
        .value_kind:     global_buffer
      - .offset:         96
        .size:           8
        .value_kind:     by_value
      - .offset:         104
        .size:           4
        .value_kind:     by_value
      - .address_space:  global
        .offset:         112
        .size:           8
        .value_kind:     global_buffer
      - .address_space:  global
        .offset:         120
        .size:           8
        .value_kind:     global_buffer
      - .address_space:  global
        .offset:         128
        .size:           8
        .value_kind:     global_buffer
      - .address_space:  global
        .offset:         136
        .size:           8
        .value_kind:     global_buffer
      - .address_space:  global
        .offset:         144
        .size:           8
        .value_kind:     global_buffer
      - .address_space:  global
        .offset:         152
        .size:           8
        .value_kind:     global_buffer
      - .offset:         160
        .size:           8
        .value_kind:     by_value
      - .offset:         168
        .size:           4
        .value_kind:     hidden_block_count_x
      - .offset:         172
        .size:           4
        .value_kind:     hidden_block_count_y
      - .offset:         176
        .size:           4
        .value_kind:     hidden_block_count_z
      - .offset:         180
        .size:           2
        .value_kind:     hidden_group_size_x
      - .offset:         182
        .size:           2
        .value_kind:     hidden_group_size_y
      - .offset:         184
        .size:           2
        .value_kind:     hidden_group_size_z
      - .offset:         186
        .size:           2
        .value_kind:     hidden_remainder_x
      - .offset:         188
        .size:           2
        .value_kind:     hidden_remainder_y
      - .offset:         190
        .size:           2
        .value_kind:     hidden_remainder_z
      - .offset:         208
        .size:           8
        .value_kind:     hidden_global_offset_x
      - .offset:         216
        .size:           8
        .value_kind:     hidden_global_offset_y
      - .offset:         224
        .size:           8
        .value_kind:     hidden_global_offset_z
      - .offset:         232
        .size:           2
        .value_kind:     hidden_grid_dims
    .group_segment_fixed_size: 0
    .kernarg_segment_align: 8
    .kernarg_segment_size: 424
    .language:       OpenCL C
    .language_version:
      - 2
      - 0
    .max_flat_workgroup_size: 1024
    .name:           _ZN9rocsolver6v33100L22stebz_synthesis_kernelIdPdEEv15rocblas_erange_15rocblas_eorder_iiiT0_iiPiS6_PT_lS6_lS6_liS6_S8_S8_S8_S8_S6_S7_
    .private_segment_fixed_size: 0
    .sgpr_count:     44
    .sgpr_spill_count: 0
    .symbol:         _ZN9rocsolver6v33100L22stebz_synthesis_kernelIdPdEEv15rocblas_erange_15rocblas_eorder_iiiT0_iiPiS6_PT_lS6_lS6_liS6_S8_S8_S8_S8_S6_S7_.kd
    .uniform_work_group_size: 1
    .uses_dynamic_stack: false
    .vgpr_count:     51
    .vgpr_spill_count: 0
    .wavefront_size: 64
  - .args:
      - .offset:         0
        .size:           4
        .value_kind:     by_value
      - .address_space:  global
        .offset:         8
        .size:           8
        .value_kind:     global_buffer
      - .address_space:  global
        .offset:         16
        .size:           8
        .value_kind:     global_buffer
      - .offset:         24
        .size:           8
        .value_kind:     by_value
      - .address_space:  global
        .offset:         32
        .size:           8
        .value_kind:     global_buffer
      - .offset:         40
        .size:           4
        .value_kind:     hidden_block_count_x
      - .offset:         44
        .size:           4
        .value_kind:     hidden_block_count_y
      - .offset:         48
        .size:           4
        .value_kind:     hidden_block_count_z
      - .offset:         52
        .size:           2
        .value_kind:     hidden_group_size_x
      - .offset:         54
        .size:           2
        .value_kind:     hidden_group_size_y
      - .offset:         56
        .size:           2
        .value_kind:     hidden_group_size_z
      - .offset:         58
        .size:           2
        .value_kind:     hidden_remainder_x
      - .offset:         60
        .size:           2
        .value_kind:     hidden_remainder_y
      - .offset:         62
        .size:           2
        .value_kind:     hidden_remainder_z
      - .offset:         80
        .size:           8
        .value_kind:     hidden_global_offset_x
      - .offset:         88
        .size:           8
        .value_kind:     hidden_global_offset_y
      - .offset:         96
        .size:           8
        .value_kind:     hidden_global_offset_z
      - .offset:         104
        .size:           2
        .value_kind:     hidden_grid_dims
    .group_segment_fixed_size: 0
    .kernarg_segment_align: 8
    .kernarg_segment_size: 296
    .language:       OpenCL C
    .language_version:
      - 2
      - 0
    .max_flat_workgroup_size: 1024
    .name:           _ZN9rocsolver6v33100L15bdsvdx_abs_eigsIdEEviPiPT_lS4_
    .private_segment_fixed_size: 0
    .sgpr_count:     20
    .sgpr_spill_count: 0
    .symbol:         _ZN9rocsolver6v33100L15bdsvdx_abs_eigsIdEEviPiPT_lS4_.kd
    .uniform_work_group_size: 1
    .uses_dynamic_stack: false
    .vgpr_count:     5
    .vgpr_spill_count: 0
    .wavefront_size: 64
  - .args:
      - .offset:         0
        .size:           4
        .value_kind:     by_value
      - .address_space:  global
        .offset:         8
        .size:           8
        .value_kind:     global_buffer
      - .offset:         16
        .size:           8
        .value_kind:     by_value
      - .address_space:  global
        .offset:         24
        .size:           8
        .value_kind:     global_buffer
      - .offset:         32
        .size:           8
        .value_kind:     by_value
      - .address_space:  global
        .offset:         40
        .size:           8
        .value_kind:     global_buffer
      - .address_space:  global
        .offset:         48
        .size:           8
        .value_kind:     global_buffer
      - .offset:         56
        .size:           8
        .value_kind:     by_value
      - .address_space:  global
        .offset:         64
        .size:           8
        .value_kind:     global_buffer
      - .offset:         72
        .size:           8
        .value_kind:     by_value
      - .address_space:  global
        .offset:         80
        .size:           8
        .value_kind:     global_buffer
      - .offset:         88
        .size:           8
        .value_kind:     by_value
      - .address_space:  global
        .offset:         96
        .size:           8
        .value_kind:     global_buffer
      - .offset:         104
        .size:           4
        .value_kind:     by_value
      - .offset:         108
        .size:           4
        .value_kind:     by_value
      - .offset:         112
        .size:           8
        .value_kind:     by_value
      - .address_space:  global
        .offset:         120
        .size:           8
        .value_kind:     global_buffer
      - .offset:         128
        .size:           8
        .value_kind:     by_value
      - .address_space:  global
        .offset:         136
        .size:           8
        .value_kind:     global_buffer
      - .address_space:  global
        .offset:         144
        .size:           8
        .value_kind:     global_buffer
      - .address_space:  global
        .offset:         152
        .size:           8
        .value_kind:     global_buffer
      - .offset:         160
        .size:           8
        .value_kind:     by_value
      - .offset:         168
        .size:           8
        .value_kind:     by_value
    .group_segment_fixed_size: 8
    .kernarg_segment_align: 8
    .kernarg_segment_size: 176
    .language:       OpenCL C
    .language_version:
      - 2
      - 0
    .max_flat_workgroup_size: 256
    .name:           _ZN9rocsolver6v33100L12stein_kernelIddPdEEviPT0_lS4_lPiS4_lS5_lS5_lT1_iilS5_lS5_S4_S5_S3_S3_
    .private_segment_fixed_size: 0
    .sgpr_count:     100
    .sgpr_spill_count: 38
    .symbol:         _ZN9rocsolver6v33100L12stein_kernelIddPdEEviPT0_lS4_lPiS4_lS5_lS5_lT1_iilS5_lS5_S4_S5_S3_S3_.kd
    .uniform_work_group_size: 1
    .uses_dynamic_stack: false
    .vgpr_count:     62
    .vgpr_spill_count: 0
    .wavefront_size: 64
  - .args:
      - .offset:         0
        .size:           4
        .value_kind:     by_value
      - .address_space:  global
        .offset:         8
        .size:           8
        .value_kind:     global_buffer
      - .address_space:  global
        .offset:         16
        .size:           8
        .value_kind:     global_buffer
      - .offset:         24
        .size:           8
        .value_kind:     by_value
      - .address_space:  global
        .offset:         32
        .size:           8
        .value_kind:     global_buffer
      - .offset:         40
        .size:           4
        .value_kind:     by_value
      - .offset:         44
        .size:           4
        .value_kind:     by_value
      - .offset:         48
        .size:           8
        .value_kind:     by_value
      - .address_space:  global
        .offset:         56
        .size:           8
        .value_kind:     global_buffer
      - .offset:         64
        .size:           8
        .value_kind:     by_value
      - .address_space:  global
        .offset:         72
        .size:           8
        .value_kind:     global_buffer
      - .address_space:  global
        .offset:         80
        .size:           8
        .value_kind:     global_buffer
      - .offset:         88
        .size:           4
        .value_kind:     hidden_block_count_x
      - .offset:         92
        .size:           4
        .value_kind:     hidden_block_count_y
      - .offset:         96
        .size:           4
        .value_kind:     hidden_block_count_z
      - .offset:         100
        .size:           2
        .value_kind:     hidden_group_size_x
      - .offset:         102
        .size:           2
        .value_kind:     hidden_group_size_y
      - .offset:         104
        .size:           2
        .value_kind:     hidden_group_size_z
      - .offset:         106
        .size:           2
        .value_kind:     hidden_remainder_x
      - .offset:         108
        .size:           2
        .value_kind:     hidden_remainder_y
      - .offset:         110
        .size:           2
        .value_kind:     hidden_remainder_z
      - .offset:         128
        .size:           8
        .value_kind:     hidden_global_offset_x
      - .offset:         136
        .size:           8
        .value_kind:     hidden_global_offset_y
      - .offset:         144
        .size:           8
        .value_kind:     hidden_global_offset_z
      - .offset:         152
        .size:           2
        .value_kind:     hidden_grid_dims
      - .offset:         168
        .size:           8
        .value_kind:     hidden_hostcall_buffer
    .group_segment_fixed_size: 0
    .kernarg_segment_align: 8
    .kernarg_segment_size: 344
    .language:       OpenCL C
    .language_version:
      - 2
      - 0
    .max_flat_workgroup_size: 256
    .name:           _ZN9rocsolver6v33100L15syevx_sort_eigsIddPdEEviPiPT0_lT1_iilS3_lS3_S3_
    .private_segment_fixed_size: 64
    .sgpr_count:     61
    .sgpr_spill_count: 0
    .symbol:         _ZN9rocsolver6v33100L15syevx_sort_eigsIddPdEEviPiPT0_lT1_iilS3_lS3_S3_.kd
    .uniform_work_group_size: 1
    .uses_dynamic_stack: false
    .vgpr_count:     53
    .vgpr_spill_count: 0
    .wavefront_size: 64
  - .args:
      - .offset:         0
        .size:           4
        .value_kind:     by_value
      - .offset:         4
        .size:           4
        .value_kind:     by_value
      - .address_space:  global
        .offset:         8
        .size:           8
        .value_kind:     global_buffer
      - .address_space:  global
        .offset:         16
        .size:           8
        .value_kind:     global_buffer
      - .offset:         24
        .size:           8
        .value_kind:     by_value
      - .address_space:  global
        .offset:         32
        .size:           8
        .value_kind:     global_buffer
      - .offset:         40
        .size:           4
        .value_kind:     by_value
      - .offset:         44
        .size:           4
        .value_kind:     by_value
      - .offset:         48
        .size:           8
        .value_kind:     by_value
      - .address_space:  global
        .offset:         56
        .size:           8
        .value_kind:     global_buffer
      - .offset:         64
        .size:           4
        .value_kind:     hidden_block_count_x
      - .offset:         68
        .size:           4
        .value_kind:     hidden_block_count_y
      - .offset:         72
        .size:           4
        .value_kind:     hidden_block_count_z
      - .offset:         76
        .size:           2
        .value_kind:     hidden_group_size_x
      - .offset:         78
        .size:           2
        .value_kind:     hidden_group_size_y
      - .offset:         80
        .size:           2
        .value_kind:     hidden_group_size_z
      - .offset:         82
        .size:           2
        .value_kind:     hidden_remainder_x
      - .offset:         84
        .size:           2
        .value_kind:     hidden_remainder_y
      - .offset:         86
        .size:           2
        .value_kind:     hidden_remainder_z
      - .offset:         104
        .size:           8
        .value_kind:     hidden_global_offset_x
      - .offset:         112
        .size:           8
        .value_kind:     hidden_global_offset_y
      - .offset:         120
        .size:           8
        .value_kind:     hidden_global_offset_z
      - .offset:         128
        .size:           2
        .value_kind:     hidden_grid_dims
    .group_segment_fixed_size: 0
    .kernarg_segment_align: 8
    .kernarg_segment_size: 320
    .language:       OpenCL C
    .language_version:
      - 2
      - 0
    .max_flat_workgroup_size: 1024
    .name:           _ZN9rocsolver6v33100L19bdsvdx_reorder_vectIdPdEEv13rocblas_fill_iPiPT_lT0_iilS6_
    .private_segment_fixed_size: 0
    .sgpr_count:     33
    .sgpr_spill_count: 0
    .symbol:         _ZN9rocsolver6v33100L19bdsvdx_reorder_vectIdPdEEv13rocblas_fill_iPiPT_lT0_iilS6_.kd
    .uniform_work_group_size: 1
    .uses_dynamic_stack: false
    .vgpr_count:     11
    .vgpr_spill_count: 0
    .wavefront_size: 64
amdhsa.target:   amdgcn-amd-amdhsa--gfx906
amdhsa.version:
  - 1
  - 2
...

	.end_amdgpu_metadata
